;; amdgpu-corpus repo=zjin-lcf/HeCBench kind=compiled arch=gfx90a opt=O3
	.text
	.amdgcn_target "amdgcn-amd-amdhsa--gfx90a"
	.amdhsa_code_object_version 6
	.section	.text._Z24reshape_and_cache_kernelIfhL18Fp8KVCacheDataType1EEvPKT_S3_PT0_S5_PKliiiiiiff,"axG",@progbits,_Z24reshape_and_cache_kernelIfhL18Fp8KVCacheDataType1EEvPKT_S3_PT0_S5_PKliiiiiiff,comdat
	.protected	_Z24reshape_and_cache_kernelIfhL18Fp8KVCacheDataType1EEvPKT_S3_PT0_S5_PKliiiiiiff ; -- Begin function _Z24reshape_and_cache_kernelIfhL18Fp8KVCacheDataType1EEvPKT_S3_PT0_S5_PKliiiiiiff
	.globl	_Z24reshape_and_cache_kernelIfhL18Fp8KVCacheDataType1EEvPKT_S3_PT0_S5_PKliiiiiiff
	.p2align	8
	.type	_Z24reshape_and_cache_kernelIfhL18Fp8KVCacheDataType1EEvPKT_S3_PT0_S5_PKliiiiiiff,@function
_Z24reshape_and_cache_kernelIfhL18Fp8KVCacheDataType1EEvPKT_S3_PT0_S5_PKliiiiiiff: ; @_Z24reshape_and_cache_kernelIfhL18Fp8KVCacheDataType1EEvPKT_S3_PT0_S5_PKliiiiiiff
; %bb.0:
	s_load_dwordx2 s[0:1], s[4:5], 0x20
	s_mov_b32 s7, 0
	s_lshl_b64 s[2:3], s[6:7], 3
	s_waitcnt lgkmcnt(0)
	s_add_u32 s0, s0, s2
	s_addc_u32 s1, s1, s3
	s_load_dwordx2 s[2:3], s[0:1], 0x0
	s_waitcnt lgkmcnt(0)
	v_cmp_lt_i64_e64 s[0:1], s[2:3], 0
	s_and_b64 vcc, exec, s[0:1]
	s_cbranch_vccnz .LBB0_129
; %bb.1:
	s_load_dwordx8 s[16:23], s[4:5], 0x28
	s_waitcnt lgkmcnt(0)
	s_ashr_i32 s27, s20, 31
	s_mov_b32 s26, s20
	s_or_b64 s[0:1], s[2:3], s[26:27]
	s_mov_b32 s0, s7
	s_cmp_lg_u64 s[0:1], 0
	s_cbranch_scc0 .LBB0_130
; %bb.2:
	s_add_u32 s0, s26, s27
	s_mov_b32 s10, s27
	s_mov_b32 s11, s27
	s_addc_u32 s1, s27, s27
	s_xor_b64 s[12:13], s[0:1], s[10:11]
	v_cvt_f32_u32_e32 v1, s12
	v_cvt_f32_u32_e32 v2, s13
	s_sub_u32 s0, 0, s12
	s_subb_u32 s1, 0, s13
	v_madmk_f32 v1, v2, 0x4f800000, v1
	v_rcp_f32_e32 v1, v1
	v_mul_f32_e32 v1, 0x5f7ffffc, v1
	v_mul_f32_e32 v2, 0x2f800000, v1
	v_trunc_f32_e32 v2, v2
	v_madmk_f32 v1, v2, 0xcf800000, v1
	v_cvt_u32_f32_e32 v2, v2
	v_cvt_u32_f32_e32 v1, v1
	v_readfirstlane_b32 s7, v2
	v_readfirstlane_b32 s14, v1
	s_mul_i32 s15, s0, s7
	s_mul_hi_u32 s25, s0, s14
	s_mul_i32 s24, s1, s14
	s_add_i32 s15, s25, s15
	s_add_i32 s15, s15, s24
	s_mul_i32 s28, s0, s14
	s_mul_hi_u32 s24, s14, s15
	s_mul_i32 s25, s14, s15
	s_mul_hi_u32 s14, s14, s28
	s_add_u32 s14, s14, s25
	s_addc_u32 s24, 0, s24
	s_mul_hi_u32 s29, s7, s28
	s_mul_i32 s28, s7, s28
	s_add_u32 s14, s14, s28
	s_mul_hi_u32 s25, s7, s15
	s_addc_u32 s14, s24, s29
	s_addc_u32 s24, s25, 0
	s_mul_i32 s15, s7, s15
	s_add_u32 s14, s14, s15
	s_addc_u32 s15, 0, s24
	v_add_co_u32_e32 v1, vcc, s14, v1
	s_cmp_lg_u64 vcc, 0
	s_addc_u32 s7, s7, s15
	v_readfirstlane_b32 s15, v1
	s_mul_i32 s14, s0, s7
	s_mul_hi_u32 s24, s0, s15
	s_add_i32 s14, s24, s14
	s_mul_i32 s1, s1, s15
	s_add_i32 s14, s14, s1
	s_mul_i32 s0, s0, s15
	s_mul_hi_u32 s24, s7, s0
	s_mul_i32 s25, s7, s0
	s_mul_i32 s29, s15, s14
	s_mul_hi_u32 s0, s15, s0
	s_mul_hi_u32 s28, s15, s14
	s_add_u32 s0, s0, s29
	s_addc_u32 s15, 0, s28
	s_add_u32 s0, s0, s25
	s_mul_hi_u32 s1, s7, s14
	s_addc_u32 s0, s15, s24
	s_addc_u32 s1, s1, 0
	s_mul_i32 s14, s7, s14
	s_add_u32 s0, s0, s14
	s_addc_u32 s1, 0, s1
	v_add_co_u32_e32 v1, vcc, s0, v1
	s_cmp_lg_u64 vcc, 0
	s_addc_u32 s7, s7, s1
	s_ashr_i32 s14, s3, 31
	s_add_u32 s0, s2, s14
	s_mov_b32 s15, s14
	s_addc_u32 s1, s3, s14
	s_xor_b64 s[24:25], s[0:1], s[14:15]
	v_readfirstlane_b32 s28, v1
	s_mul_i32 s1, s24, s7
	s_mul_hi_u32 s29, s24, s28
	s_mul_hi_u32 s0, s24, s7
	s_add_u32 s1, s29, s1
	s_addc_u32 s0, 0, s0
	s_mul_hi_u32 s30, s25, s28
	s_mul_i32 s28, s25, s28
	s_add_u32 s1, s1, s28
	s_mul_hi_u32 s29, s25, s7
	s_addc_u32 s0, s0, s30
	s_addc_u32 s1, s29, 0
	s_mul_i32 s7, s25, s7
	s_add_u32 s7, s0, s7
	s_addc_u32 s28, 0, s1
	s_mul_i32 s0, s12, s28
	s_mul_hi_u32 s1, s12, s7
	s_add_i32 s0, s1, s0
	s_mul_i32 s1, s13, s7
	s_add_i32 s29, s0, s1
	s_mul_i32 s1, s12, s7
	v_mov_b32_e32 v1, s1
	s_sub_i32 s0, s25, s29
	v_sub_co_u32_e32 v1, vcc, s24, v1
	s_cmp_lg_u64 vcc, 0
	s_subb_u32 s24, s0, s13
	v_subrev_co_u32_e64 v2, s[0:1], s12, v1
	s_cmp_lg_u64 s[0:1], 0
	s_subb_u32 s0, s24, 0
	s_cmp_ge_u32 s0, s13
	v_readfirstlane_b32 s24, v2
	s_cselect_b32 s1, -1, 0
	s_cmp_ge_u32 s24, s12
	s_cselect_b32 s24, -1, 0
	s_cmp_eq_u32 s0, s13
	s_cselect_b32 s0, s24, s1
	s_add_u32 s1, s7, 1
	s_addc_u32 s24, s28, 0
	s_add_u32 s30, s7, 2
	s_addc_u32 s31, s28, 0
	s_cmp_lg_u32 s0, 0
	s_cselect_b32 s0, s30, s1
	s_cselect_b32 s1, s31, s24
	s_cmp_lg_u64 vcc, 0
	s_subb_u32 s24, s25, s29
	s_cmp_ge_u32 s24, s13
	v_readfirstlane_b32 s29, v1
	s_cselect_b32 s25, -1, 0
	s_cmp_ge_u32 s29, s12
	s_cselect_b32 s12, -1, 0
	s_cmp_eq_u32 s24, s13
	s_cselect_b32 s12, s12, s25
	s_cmp_lg_u32 s12, 0
	s_cselect_b32 s1, s1, s28
	s_cselect_b32 s0, s0, s7
	s_xor_b64 s[10:11], s[14:15], s[10:11]
	s_xor_b64 s[0:1], s[0:1], s[10:11]
	s_sub_u32 s0, s0, s10
	s_subb_u32 s1, s1, s11
	s_cbranch_execnz .LBB0_4
.LBB0_3:
	v_cvt_f32_u32_e32 v1, s26
	s_sub_i32 s0, 0, s26
	s_mov_b32 s1, 0
	v_rcp_iflag_f32_e32 v1, v1
	v_mul_f32_e32 v1, 0x4f7ffffe, v1
	v_cvt_u32_f32_e32 v1, v1
	v_readfirstlane_b32 s7, v1
	s_mul_i32 s0, s0, s7
	s_mul_hi_u32 s0, s7, s0
	s_add_i32 s7, s7, s0
	s_mul_hi_u32 s0, s2, s7
	s_mul_i32 s8, s0, s26
	s_sub_i32 s8, s2, s8
	s_add_i32 s7, s0, 1
	s_sub_i32 s9, s8, s26
	s_cmp_ge_u32 s8, s26
	s_cselect_b32 s0, s7, s0
	s_cselect_b32 s8, s9, s8
	s_add_i32 s7, s0, 1
	s_cmp_ge_u32 s8, s26
	s_cselect_b32 s0, s7, s0
.LBB0_4:
	s_abs_i32 s7, s21
	v_cvt_f32_u32_e32 v1, s7
	s_sub_i32 s10, 0, s7
	s_abs_i32 s9, s19
	s_xor_b32 s8, s19, s21
	v_rcp_iflag_f32_e32 v1, v1
	s_ashr_i32 s8, s8, 31
	s_mov_b32 s25, 0
	v_mul_f32_e32 v1, 0x4f7ffffe, v1
	v_cvt_u32_f32_e32 v1, v1
	v_readfirstlane_b32 s11, v1
	s_mul_i32 s10, s10, s11
	s_mul_hi_u32 s10, s11, s10
	s_add_i32 s11, s11, s10
	s_mul_hi_u32 s10, s9, s11
	s_mul_i32 s11, s10, s7
	s_sub_i32 s9, s9, s11
	s_add_i32 s12, s10, 1
	s_sub_i32 s11, s9, s7
	s_cmp_ge_u32 s9, s7
	s_cselect_b32 s10, s12, s10
	s_cselect_b32 s9, s11, s9
	s_add_i32 s11, s10, 1
	s_cmp_ge_u32 s9, s7
	s_cselect_b32 s7, s11, s10
	s_xor_b32 s7, s7, s8
	s_sub_i32 s33, s7, s8
	s_mul_i32 s50, s33, s18
	v_cmp_gt_i32_e32 vcc, s50, v0
	s_and_saveexec_b64 s[8:9], vcc
	s_cbranch_execz .LBB0_129
; %bb.5:
	s_mul_i32 s7, s0, s27
	s_mul_hi_u32 s24, s0, s26
	s_add_i32 s7, s24, s7
	s_mul_i32 s24, s1, s26
	s_add_i32 s24, s7, s24
	s_mul_i32 s36, s0, s26
	s_load_dwordx8 s[8:15], s[4:5], 0x0
	s_sub_u32 s51, s2, s36
	s_subb_u32 s52, s3, s24
	s_ashr_i32 s7, s16, 31
	s_mul_hi_u32 s27, s16, s6
	s_mul_i32 s7, s7, s6
	s_add_i32 s29, s27, s7
	s_mul_i32 s28, s16, s6
	s_lshl_b64 s[28:29], s[28:29], 2
	s_waitcnt lgkmcnt(0)
	s_add_u32 s53, s8, s28
	s_addc_u32 s54, s9, s29
	s_ashr_i32 s7, s17, 31
	s_mul_hi_u32 s8, s17, s6
	s_mul_i32 s7, s7, s6
	s_add_i32 s7, s8, s7
	s_mul_i32 s1, s50, s1
	s_mul_hi_u32 s8, s50, s0
	s_add_i32 s1, s8, s1
	s_mul_hi_i32 s8, s18, s33
	s_mul_i32 s9, s8, s0
	s_mul_i32 s6, s17, s6
	s_add_i32 s1, s1, s9
	s_mul_i32 s0, s50, s0
	s_mul_i32 s17, s21, s26
	s_mul_hi_i32 s16, s21, s26
	s_mul_hi_u32 s18, s17, s0
	s_mul_i32 s1, s17, s1
	s_add_i32 s1, s18, s1
	s_mul_i32 s16, s16, s0
	s_ashr_i32 s9, s21, 31
	s_add_i32 s16, s1, s16
	s_mul_i32 s17, s17, s0
	s_add_u32 s18, s12, s17
	s_mul_i32 s0, s51, s9
	s_mul_hi_u32 s1, s51, s21
	s_addc_u32 s55, s13, s16
	s_add_i32 s0, s1, s0
	s_mul_i32 s1, s52, s21
	s_add_i32 s56, s0, s1
	s_and_b32 s0, s21, 3
	s_cmp_eq_u32 s0, 0
	s_cselect_b64 s[0:1], -1, 0
	s_ashr_i32 s57, s21, 2
	s_cmp_gt_i32 s57, 0
	s_cselect_b64 s[26:27], -1, 0
	s_lshl_b64 s[6:7], s[6:7], 2
	s_add_u32 s58, s10, s6
	s_load_dword s4, s[4:5], 0x54
	s_addc_u32 s59, s11, s7
	s_add_u32 s60, s14, s17
	s_addc_u32 s61, s15, s16
	s_cmp_gt_i32 s21, 0
	s_cselect_b64 s[28:29], -1, 0
	s_waitcnt lgkmcnt(0)
	s_and_b32 s62, s4, 0xffff
	s_cmp_lg_u32 s21, 1
	s_cselect_b64 s[4:5], -1, 0
	s_cmp_eq_u32 s20, 1
	s_cselect_b64 s[6:7], -1, 0
	s_and_b64 s[30:31], s[4:5], s[6:7]
	s_and_b32 s63, s21, 0x7ffffffe
	s_cmp_lg_u32 s63, s21
	s_cselect_b64 s[34:35], -1, 0
	s_abs_i32 s64, s33
	v_cvt_f32_u32_e32 v1, s64
	s_ashr_i32 s71, s33, 31
	s_sub_i32 s4, 0, s64
	s_mul_i32 s65, s21, s20
	v_rcp_iflag_f32_e32 v1, v1
	s_mul_i32 s66, s51, s21
	s_mov_b32 s67, s22
	s_mov_b32 s68, s22
	v_mul_f32_e32 v1, 0x4f7ffffe, v1
	v_cvt_u32_f32_e32 v1, v1
	s_mov_b32 s69, s23
	s_mov_b32 s70, s23
	v_mov_b32_e32 v7, 0
	v_mul_lo_u32 v2, s4, v1
	s_add_u32 s4, s50, -1
	s_addc_u32 s5, s8, -1
	s_mul_i32 s5, s36, s5
	s_mul_hi_u32 s6, s36, s4
	s_mul_i32 s24, s24, s4
	s_add_i32 s5, s6, s5
	s_add_i32 s5, s5, s24
	s_mul_i32 s36, s36, s4
	s_add_u32 s2, s2, s36
	s_addc_u32 s3, s3, s5
	s_mul_i32 s4, s2, s9
	s_mul_hi_u32 s5, s2, s21
	s_add_i32 s4, s5, s4
	s_mul_i32 s3, s3, s21
	s_add_i32 s4, s4, s3
	s_mul_i32 s2, s2, s21
	s_add_u32 s72, s12, s2
	s_addc_u32 s73, s13, s4
	v_mul_hi_u32 v2, v1, v2
	s_add_u32 s74, s53, 8
	v_add_u32_e32 v1, v1, v2
	s_addc_u32 s75, s54, 0
	s_mov_b64 s[36:37], 0
	v_mov_b32_e32 v32, s54
	s_xor_b64 s[38:39], s[0:1], -1
	s_movk_i32 s76, 0x7f
	s_mov_b64 s[40:41], 0x7f800000
	s_mov_b64 s[42:43], 0x43700001
	s_movk_i32 s77, 0x79
	s_mov_b64 s[44:45], 0xffffff
	s_movk_i32 s78, 0x80
	s_mov_b32 s79, 0x4020c0c
	v_mov_b32_e32 v33, 0xffffff82
	v_mov_b32_e32 v34, 0x77
	s_branch .LBB0_7
.LBB0_6:                                ;   in Loop: Header=BB0_7 Depth=1
	v_add_u32_e32 v0, s62, v0
	v_cmp_le_i32_e32 vcc, s50, v0
	s_or_b64 s[36:37], vcc, s[36:37]
	s_andn2_b64 exec, exec, s[36:37]
	s_cbranch_execz .LBB0_129
.LBB0_7:                                ; =>This Loop Header: Depth=1
                                        ;     Child Loop BB0_14 Depth 2
                                        ;     Child Loop BB0_26 Depth 2
	;; [unrolled: 1-line block ×7, first 2 shown]
	v_sub_u32_e32 v3, 0, v0
	v_max_i32_e32 v3, v0, v3
	v_mul_hi_u32 v4, v3, v1
	v_mul_lo_u32 v5, v4, s64
	v_sub_u32_e32 v3, v3, v5
	v_add_u32_e32 v5, 1, v4
	v_cmp_le_u32_e32 vcc, s64, v3
	v_cndmask_b32_e32 v4, v4, v5, vcc
	v_subrev_u32_e32 v5, s64, v3
	v_cndmask_b32_e32 v3, v3, v5, vcc
	v_ashrrev_i32_e32 v2, 31, v0
	v_add_u32_e32 v5, 1, v4
	v_cmp_le_u32_e32 vcc, s64, v3
	v_xor_b32_e32 v2, s71, v2
	v_cndmask_b32_e32 v3, v4, v5, vcc
	v_xor_b32_e32 v3, v3, v2
	v_sub_u32_e32 v2, v3, v2
	v_mul_lo_u32 v4, v2, s33
	v_mul_lo_u32 v2, v2, s19
	v_sub_u32_e32 v5, v0, v4
	v_ashrrev_i32_e32 v3, 31, v2
	v_lshlrev_b64 v[8:9], 2, v[2:3]
	v_mul_lo_u32 v12, v5, s21
	v_add_co_u32_e32 v2, vcc, s53, v8
	v_ashrrev_i32_e32 v13, 31, v12
	v_addc_co_u32_e32 v3, vcc, v32, v9, vcc
	v_lshlrev_b64 v[10:11], 2, v[12:13]
	v_add_co_u32_e32 v2, vcc, v2, v10
	v_addc_co_u32_e32 v3, vcc, v3, v11, vcc
	v_and_b32_e32 v6, 15, v2
	v_mul_lo_u32 v13, v4, s65
	v_mul_lo_u32 v36, s65, v5
	v_cmp_ne_u64_e32 vcc, 0, v[6:7]
	v_ashrrev_i32_e32 v35, 31, v13
	v_ashrrev_i32_e32 v37, 31, v36
	s_or_b64 s[0:1], s[38:39], vcc
	s_and_saveexec_b64 s[2:3], s[0:1]
	s_xor_b64 s[14:15], exec, s[2:3]
	s_cbranch_execz .LBB0_75
; %bb.8:                                ;   in Loop: Header=BB0_7 Depth=1
	v_sub_u32_e32 v4, 0, v2
	v_bfe_u32 v4, v4, 2, 2
	v_min_i32_e32 v14, s21, v4
	v_cmp_lt_i32_e32 vcc, 0, v14
	s_and_saveexec_b64 s[2:3], vcc
	s_cbranch_execz .LBB0_21
; %bb.9:                                ;   in Loop: Header=BB0_7 Depth=1
	v_add_co_u32_e32 v4, vcc, v13, v36
	v_addc_co_u32_e32 v5, vcc, v35, v37, vcc
	v_mov_b32_e32 v6, s73
	v_add_co_u32_e32 v4, vcc, s72, v4
	v_addc_co_u32_e32 v5, vcc, v6, v5, vcc
	s_mov_b64 s[4:5], 0
	v_pk_mov_b32 v[16:17], v[2:3], v[2:3] op_sel:[0,1]
	v_mov_b32_e32 v15, v14
	s_branch .LBB0_14
.LBB0_10:                               ;   in Loop: Header=BB0_14 Depth=2
	s_or_b64 exec, exec, s[0:1]
	v_lshrrev_b64 v[18:19], 20, v[18:19]
	v_cmp_gt_i32_e32 vcc, 16, v6
	v_and_b32_sdwa v20, v20, s78 dst_sel:DWORD dst_unused:UNUSED_PAD src0_sel:BYTE_3 src1_sel:DWORD
	v_min_i32_e32 v21, 15, v6
	v_cndmask_b32_e32 v19, 0, v19, vcc
	v_cndmask_b32_e32 v18, 7, v18, vcc
	v_cmp_eq_u32_e32 vcc, 0, v6
	v_cmp_eq_u64_e64 s[0:1], 0, v[18:19]
	v_lshl_or_b32 v6, v21, 3, v20
	v_and_or_b32 v6, v18, 7, v6
	s_and_b64 s[0:1], vcc, s[0:1]
	v_cndmask_b32_e64 v18, v6, 0, s[0:1]
.LBB0_11:                               ;   in Loop: Header=BB0_14 Depth=2
	s_or_b64 exec, exec, s[10:11]
.LBB0_12:                               ;   in Loop: Header=BB0_14 Depth=2
	s_andn2_saveexec_b64 s[0:1], s[8:9]
	s_or_b64 exec, exec, s[0:1]
.LBB0_13:                               ;   in Loop: Header=BB0_14 Depth=2
	s_andn2_saveexec_b64 s[0:1], s[6:7]
	s_or_b64 exec, exec, s[0:1]
	v_add_co_u32_e32 v16, vcc, 4, v16
	v_add_u32_e32 v15, -1, v15
	v_addc_co_u32_e32 v17, vcc, 0, v17, vcc
	v_cmp_eq_u32_e32 vcc, 0, v15
	global_store_byte v[4:5], v18, off
	s_or_b64 s[4:5], vcc, s[4:5]
	v_add_co_u32_e32 v4, vcc, 1, v4
	v_addc_co_u32_e32 v5, vcc, 0, v5, vcc
	s_andn2_b64 exec, exec, s[4:5]
	s_cbranch_execz .LBB0_21
.LBB0_14:                               ;   Parent Loop BB0_7 Depth=1
                                        ; =>  This Inner Loop Header: Depth=2
	global_load_dword v6, v[16:17], off
	s_waitcnt vmcnt(0)
	v_div_scale_f32 v18, s[0:1], s22, s22, v6
	v_rcp_f32_e32 v19, v18
	v_div_scale_f32 v20, vcc, v6, s22, v6
	v_fma_f32 v21, -v18, v19, 1.0
	v_fmac_f32_e32 v19, v21, v19
	v_mul_f32_e32 v21, v20, v19
	v_fma_f32 v22, -v18, v21, v20
	v_fmac_f32_e32 v21, v22, v19
	v_fma_f32 v18, -v18, v21, v20
	v_div_fmas_f32 v18, v18, v19, v21
	v_div_fixup_f32 v20, v18, s22, v6
	v_and_b32_e32 v6, 0x7f800000, v20
	v_or_b32_sdwa v18, v20, s76 dst_sel:DWORD dst_unused:UNUSED_PAD src0_sel:BYTE_3 src1_sel:DWORD
	v_cmp_ne_u64_e32 vcc, s[40:41], v[6:7]
	s_and_saveexec_b64 s[0:1], vcc
	s_xor_b64 s[6:7], exec, s[0:1]
	s_cbranch_execz .LBB0_13
; %bb.15:                               ;   in Loop: Header=BB0_14 Depth=2
	v_and_b32_e32 v6, 0x7fffffff, v20
	v_cmp_gt_u64_e32 vcc, s[42:43], v[6:7]
	s_and_saveexec_b64 s[0:1], vcc
	s_xor_b64 s[8:9], exec, s[0:1]
	s_cbranch_execz .LBB0_12
; %bb.16:                               ;   in Loop: Header=BB0_14 Depth=2
	v_cmp_ne_u32_e32 vcc, 0, v20
	v_mov_b32_e32 v18, 0
	s_and_saveexec_b64 s[10:11], vcc
	s_cbranch_execz .LBB0_11
; %bb.17:                               ;   in Loop: Header=BB0_14 Depth=2
	v_bfe_u32 v18, v20, 23, 8
	v_sub_u32_e32 v21, 0x78, v18
	v_cmp_gt_u32_e32 vcc, s77, v18
	v_cndmask_b32_e32 v21, 0, v21, vcc
	v_cmp_eq_u32_e32 vcc, 0, v18
	v_and_b32_e32 v6, 0x7fffff, v20
	v_cndmask_b32_e32 v21, v21, v34, vcc
	v_add_u32_e32 v19, 0xffffff81, v18
	v_or_b32_e32 v22, 0x800000, v6
	v_add_u32_e32 v18, 20, v21
	v_cndmask_b32_e32 v23, v19, v33, vcc
	v_cndmask_b32_e32 v6, v22, v6, vcc
	v_lshlrev_b64 v[18:19], v18, -1
	v_not_b32_e32 v18, v18
	v_lshrrev_b64 v[26:27], v21, v[6:7]
	v_and_b32_e32 v18, v6, v18
	v_add_u32_e32 v22, 19, v21
	v_lshrrev_b32_e32 v6, 23, v26
	v_mov_b32_e32 v19, v7
	v_lshlrev_b64 v[24:25], v22, 1
	v_add3_u32 v22, v21, v23, v6
	v_bfe_u32 v6, v26, 20, 1
	v_add_u32_e32 v6, -1, v6
	v_cmp_eq_u64_e32 vcc, v[18:19], v[24:25]
	v_cndmask_b32_e32 v6, 0, v6, vcc
	v_add_u32_e32 v6, v6, v26
	v_and_b32_e32 v6, 0xfffff, v6
	v_add_co_u32_e32 v18, vcc, v6, v26
	v_add_u32_e32 v21, 7, v22
	v_addc_co_u32_e32 v19, vcc, 0, v27, vcc
	v_cmp_ne_u32_e32 vcc, 0, v21
                                        ; implicit-def: $vgpr6
	s_and_saveexec_b64 s[0:1], vcc
	s_xor_b64 s[0:1], exec, s[0:1]
; %bb.18:                               ;   in Loop: Header=BB0_14 Depth=2
	v_add_u32_e32 v6, 8, v22
	v_cmp_lt_u64_e32 vcc, s[44:45], v[18:19]
	v_cndmask_b32_e32 v6, v21, v6, vcc
	v_cndmask_b32_e64 v21, 0, 1, vcc
	v_lshrrev_b64 v[18:19], v21, v[18:19]
; %bb.19:                               ;   in Loop: Header=BB0_14 Depth=2
	s_andn2_saveexec_b64 s[0:1], s[0:1]
	s_cbranch_execz .LBB0_10
; %bb.20:                               ;   in Loop: Header=BB0_14 Depth=2
	v_bfe_u32 v6, v18, 23, 1
	s_branch .LBB0_10
.LBB0_21:                               ;   in Loop: Header=BB0_7 Depth=1
	s_or_b64 exec, exec, s[2:3]
	v_ashrrev_i32_e32 v15, 31, v14
	v_lshlrev_b64 v[16:17], 2, v[14:15]
	v_sub_u32_e32 v38, s21, v14
	v_add_co_u32_e32 v18, vcc, v2, v16
	v_ashrrev_i32_e32 v2, 31, v38
	v_lshrrev_b32_e32 v2, 30, v2
	v_addc_co_u32_e32 v19, vcc, v3, v17, vcc
	v_add_u32_e32 v2, v38, v2
	v_ashrrev_i32_e32 v26, 2, v2
	v_cmp_lt_i32_e32 vcc, 3, v38
	s_and_saveexec_b64 s[2:3], vcc
	s_cbranch_execz .LBB0_56
; %bb.22:                               ;   in Loop: Header=BB0_7 Depth=1
	v_add_co_u32_e32 v2, vcc, v14, v13
	v_addc_co_u32_e32 v3, vcc, v15, v35, vcc
	v_add_co_u32_e32 v2, vcc, v2, v36
	v_addc_co_u32_e32 v3, vcc, v3, v37, vcc
	v_mov_b32_e32 v4, s73
	v_add_co_u32_e32 v20, vcc, s72, v2
	v_addc_co_u32_e32 v21, vcc, v4, v3, vcc
	s_mov_b64 s[4:5], 0
	v_pk_mov_b32 v[22:23], v[18:19], v[18:19] op_sel:[0,1]
	v_mov_b32_e32 v27, v26
	s_branch .LBB0_26
.LBB0_23:                               ;   in Loop: Header=BB0_26 Depth=2
	s_or_b64 exec, exec, s[0:1]
	v_lshrrev_b64 v[2:3], 20, v[2:3]
	v_cmp_gt_i32_e32 vcc, 16, v6
	v_min_i32_e32 v28, 15, v6
	v_cndmask_b32_e32 v3, 0, v3, vcc
	v_cndmask_b32_e32 v2, 7, v2, vcc
	v_and_b32_sdwa v5, v5, s78 dst_sel:DWORD dst_unused:UNUSED_PAD src0_sel:BYTE_3 src1_sel:DWORD
	v_cmp_eq_u32_e32 vcc, 0, v6
	v_cmp_eq_u64_e64 s[0:1], 0, v[2:3]
	v_lshlrev_b32_e32 v3, 3, v28
	v_and_b32_e32 v2, 7, v2
	v_or3_b32 v2, v3, v5, v2
	s_and_b64 s[0:1], vcc, s[0:1]
	v_cndmask_b32_e64 v2, v2, 0, s[0:1]
.LBB0_24:                               ;   in Loop: Header=BB0_26 Depth=2
	s_or_b64 exec, exec, s[8:9]
.LBB0_25:                               ;   in Loop: Header=BB0_26 Depth=2
	s_or_b64 exec, exec, s[6:7]
	v_lshlrev_b32_e32 v3, 16, v4
	v_perm_b32 v2, v2, v3, s79
	v_lshlrev_b32_e32 v3, 8, v25
	v_and_b32_e32 v3, 0xff00, v3
	v_and_b32_e32 v4, 0xff, v24
	v_or3_b32 v2, v2, v3, v4
	global_store_dword v[20:21], v2, off
	v_add_co_u32_e32 v20, vcc, 4, v20
	v_add_u32_e32 v27, -1, v27
	v_addc_co_u32_e32 v21, vcc, 0, v21, vcc
	v_cmp_eq_u32_e32 vcc, 0, v27
	s_or_b64 s[4:5], vcc, s[4:5]
	v_add_co_u32_e32 v22, vcc, 16, v22
	v_addc_co_u32_e32 v23, vcc, 0, v23, vcc
	s_andn2_b64 exec, exec, s[4:5]
	s_cbranch_execz .LBB0_56
.LBB0_26:                               ;   Parent Loop BB0_7 Depth=1
                                        ; =>  This Inner Loop Header: Depth=2
	global_load_dwordx4 v[2:5], v[22:23], off
	s_waitcnt vmcnt(0)
	v_div_scale_f32 v6, s[0:1], s22, s22, v2
	v_rcp_f32_e32 v24, v6
	v_div_scale_f32 v25, vcc, v2, s22, v2
	v_fma_f32 v28, -v6, v24, 1.0
	v_fmac_f32_e32 v24, v28, v24
	v_mul_f32_e32 v28, v25, v24
	v_fma_f32 v29, -v6, v28, v25
	v_fmac_f32_e32 v28, v29, v24
	v_fma_f32 v6, -v6, v28, v25
	v_div_fmas_f32 v6, v6, v24, v28
	v_div_fixup_f32 v2, v6, s22, v2
	v_and_b32_e32 v6, 0x7f800000, v2
	v_cmp_ne_u64_e32 vcc, s[40:41], v[6:7]
	v_and_b32_e32 v6, 0x7fffffff, v2
	v_cmp_gt_u64_e64 s[0:1], s[42:43], v[6:7]
	v_or_b32_sdwa v24, v2, s76 dst_sel:DWORD dst_unused:UNUSED_PAD src0_sel:BYTE_3 src1_sel:DWORD
	s_and_b64 s[0:1], vcc, s[0:1]
	s_and_saveexec_b64 s[6:7], s[0:1]
	s_cbranch_execz .LBB0_34
; %bb.27:                               ;   in Loop: Header=BB0_26 Depth=2
	v_cmp_ne_u32_e32 vcc, 0, v2
	v_mov_b32_e32 v24, 0
	s_and_saveexec_b64 s[8:9], vcc
	s_cbranch_execz .LBB0_33
; %bb.28:                               ;   in Loop: Header=BB0_26 Depth=2
	v_bfe_u32 v24, v2, 23, 8
	v_sub_u32_e32 v28, 0x78, v24
	v_cmp_gt_u32_e32 vcc, s77, v24
	v_cndmask_b32_e32 v28, 0, v28, vcc
	v_cmp_eq_u32_e32 vcc, 0, v24
	v_and_b32_e32 v6, 0x7fffff, v2
	v_cndmask_b32_e32 v28, v28, v34, vcc
	v_add_u32_e32 v25, 0xffffff81, v24
	v_or_b32_e32 v29, 0x800000, v6
	v_add_u32_e32 v24, 20, v28
	v_cndmask_b32_e32 v39, v25, v33, vcc
	v_cndmask_b32_e32 v6, v29, v6, vcc
	v_lshlrev_b64 v[24:25], v24, -1
	v_not_b32_e32 v24, v24
	v_lshrrev_b64 v[40:41], v28, v[6:7]
	v_and_b32_e32 v24, v6, v24
	v_add_u32_e32 v29, 19, v28
	v_lshrrev_b32_e32 v6, 23, v40
	v_mov_b32_e32 v25, v7
	v_lshlrev_b64 v[30:31], v29, 1
	v_add3_u32 v29, v28, v39, v6
	v_bfe_u32 v6, v40, 20, 1
	v_add_u32_e32 v6, -1, v6
	v_cmp_eq_u64_e32 vcc, v[24:25], v[30:31]
	v_cndmask_b32_e32 v6, 0, v6, vcc
	v_add_u32_e32 v6, v6, v40
	v_and_b32_e32 v6, 0xfffff, v6
	v_add_co_u32_e32 v24, vcc, v6, v40
	v_add_u32_e32 v28, 7, v29
	v_addc_co_u32_e32 v25, vcc, 0, v41, vcc
	v_cmp_ne_u32_e32 vcc, 0, v28
                                        ; implicit-def: $vgpr6
	s_and_saveexec_b64 s[0:1], vcc
	s_xor_b64 s[0:1], exec, s[0:1]
; %bb.29:                               ;   in Loop: Header=BB0_26 Depth=2
	v_add_u32_e32 v6, 8, v29
	v_cmp_lt_u64_e32 vcc, s[44:45], v[24:25]
	v_cndmask_b32_e32 v6, v28, v6, vcc
	v_cndmask_b32_e64 v28, 0, 1, vcc
	v_lshrrev_b64 v[24:25], v28, v[24:25]
; %bb.30:                               ;   in Loop: Header=BB0_26 Depth=2
	s_andn2_saveexec_b64 s[0:1], s[0:1]
; %bb.31:                               ;   in Loop: Header=BB0_26 Depth=2
	v_bfe_u32 v6, v24, 23, 1
; %bb.32:                               ;   in Loop: Header=BB0_26 Depth=2
	s_or_b64 exec, exec, s[0:1]
	v_lshrrev_b64 v[24:25], 20, v[24:25]
	v_cmp_gt_i32_e32 vcc, 16, v6
	v_min_i32_e32 v28, 15, v6
	v_cndmask_b32_e32 v25, 0, v25, vcc
	v_cndmask_b32_e32 v24, 7, v24, vcc
	v_and_b32_sdwa v2, v2, s78 dst_sel:DWORD dst_unused:UNUSED_PAD src0_sel:BYTE_3 src1_sel:DWORD
	v_cmp_eq_u32_e32 vcc, 0, v6
	v_cmp_eq_u64_e64 s[0:1], 0, v[24:25]
	v_lshlrev_b32_e32 v6, 3, v28
	v_and_b32_e32 v24, 7, v24
	v_or3_b32 v2, v6, v2, v24
	s_and_b64 s[0:1], vcc, s[0:1]
	v_cndmask_b32_e64 v24, v2, 0, s[0:1]
.LBB0_33:                               ;   in Loop: Header=BB0_26 Depth=2
	s_or_b64 exec, exec, s[8:9]
.LBB0_34:                               ;   in Loop: Header=BB0_26 Depth=2
	s_or_b64 exec, exec, s[6:7]
	v_div_scale_f32 v2, s[0:1], s22, s22, v3
	v_rcp_f32_e32 v6, v2
	v_div_scale_f32 v25, vcc, v3, s22, v3
	v_fma_f32 v28, -v2, v6, 1.0
	v_fmac_f32_e32 v6, v28, v6
	v_mul_f32_e32 v28, v25, v6
	v_fma_f32 v29, -v2, v28, v25
	v_fmac_f32_e32 v28, v29, v6
	v_fma_f32 v2, -v2, v28, v25
	v_div_fmas_f32 v2, v2, v6, v28
	v_div_fixup_f32 v28, v2, s22, v3
	v_and_b32_e32 v6, 0x7f800000, v28
	v_cmp_ne_u64_e32 vcc, s[40:41], v[6:7]
	v_and_b32_e32 v6, 0x7fffffff, v28
	v_cmp_gt_u64_e64 s[0:1], s[42:43], v[6:7]
	v_or_b32_sdwa v25, v28, s76 dst_sel:DWORD dst_unused:UNUSED_PAD src0_sel:BYTE_3 src1_sel:DWORD
	s_and_b64 s[0:1], vcc, s[0:1]
	s_and_saveexec_b64 s[6:7], s[0:1]
	s_cbranch_execz .LBB0_42
; %bb.35:                               ;   in Loop: Header=BB0_26 Depth=2
	v_cmp_ne_u32_e32 vcc, 0, v28
	v_mov_b32_e32 v25, 0
	s_and_saveexec_b64 s[8:9], vcc
	s_cbranch_execz .LBB0_41
; %bb.36:                               ;   in Loop: Header=BB0_26 Depth=2
	v_bfe_u32 v3, v28, 23, 8
	v_sub_u32_e32 v25, 0x78, v3
	v_cmp_gt_u32_e32 vcc, s77, v3
	v_and_b32_e32 v2, 0x7fffff, v28
	v_cndmask_b32_e32 v25, 0, v25, vcc
	v_cmp_eq_u32_e32 vcc, 0, v3
	v_add_u32_e32 v6, 0xffffff81, v3
	v_or_b32_e32 v29, 0x800000, v2
	v_cndmask_b32_e32 v25, v25, v34, vcc
	v_cndmask_b32_e32 v39, v6, v33, vcc
	;; [unrolled: 1-line block ×3, first 2 shown]
	v_add_u32_e32 v2, 20, v25
	v_lshlrev_b64 v[2:3], v2, -1
	v_not_b32_e32 v2, v2
	v_lshrrev_b64 v[40:41], v25, v[6:7]
	v_and_b32_e32 v2, v6, v2
	v_add_u32_e32 v29, 19, v25
	v_lshrrev_b32_e32 v6, 23, v40
	v_mov_b32_e32 v3, v7
	v_lshlrev_b64 v[30:31], v29, 1
	v_add3_u32 v29, v25, v39, v6
	v_bfe_u32 v6, v40, 20, 1
	v_add_u32_e32 v6, -1, v6
	v_cmp_eq_u64_e32 vcc, v[2:3], v[30:31]
	v_cndmask_b32_e32 v2, 0, v6, vcc
	v_add_u32_e32 v2, v2, v40
	v_and_b32_e32 v2, 0xfffff, v2
	v_add_co_u32_e32 v2, vcc, v2, v40
	v_add_u32_e32 v25, 7, v29
	v_addc_co_u32_e32 v3, vcc, 0, v41, vcc
	v_cmp_ne_u32_e32 vcc, 0, v25
                                        ; implicit-def: $vgpr6
	s_and_saveexec_b64 s[0:1], vcc
	s_xor_b64 s[0:1], exec, s[0:1]
; %bb.37:                               ;   in Loop: Header=BB0_26 Depth=2
	v_add_u32_e32 v6, 8, v29
	v_cmp_lt_u64_e32 vcc, s[44:45], v[2:3]
	v_cndmask_b32_e32 v6, v25, v6, vcc
	v_cndmask_b32_e64 v25, 0, 1, vcc
	v_lshrrev_b64 v[2:3], v25, v[2:3]
; %bb.38:                               ;   in Loop: Header=BB0_26 Depth=2
	s_andn2_saveexec_b64 s[0:1], s[0:1]
; %bb.39:                               ;   in Loop: Header=BB0_26 Depth=2
	v_bfe_u32 v6, v2, 23, 1
; %bb.40:                               ;   in Loop: Header=BB0_26 Depth=2
	s_or_b64 exec, exec, s[0:1]
	v_lshrrev_b64 v[2:3], 20, v[2:3]
	v_cmp_gt_i32_e32 vcc, 16, v6
	v_and_b32_sdwa v25, v28, s78 dst_sel:DWORD dst_unused:UNUSED_PAD src0_sel:BYTE_3 src1_sel:DWORD
	v_min_i32_e32 v28, 15, v6
	v_cndmask_b32_e32 v3, 0, v3, vcc
	v_cndmask_b32_e32 v2, 7, v2, vcc
	v_cmp_eq_u32_e32 vcc, 0, v6
	v_cmp_eq_u64_e64 s[0:1], 0, v[2:3]
	v_lshlrev_b32_e32 v3, 3, v28
	v_and_b32_e32 v2, 7, v2
	v_or3_b32 v2, v3, v25, v2
	s_and_b64 s[0:1], vcc, s[0:1]
	v_cndmask_b32_e64 v25, v2, 0, s[0:1]
.LBB0_41:                               ;   in Loop: Header=BB0_26 Depth=2
	s_or_b64 exec, exec, s[8:9]
.LBB0_42:                               ;   in Loop: Header=BB0_26 Depth=2
	s_or_b64 exec, exec, s[6:7]
	v_div_scale_f32 v2, s[0:1], s22, s22, v4
	v_rcp_f32_e32 v3, v2
	v_div_scale_f32 v6, vcc, v4, s22, v4
	v_fma_f32 v28, -v2, v3, 1.0
	v_fmac_f32_e32 v3, v28, v3
	v_mul_f32_e32 v28, v6, v3
	v_fma_f32 v29, -v2, v28, v6
	v_fmac_f32_e32 v28, v29, v3
	v_fma_f32 v2, -v2, v28, v6
	v_div_fmas_f32 v2, v2, v3, v28
	v_div_fixup_f32 v28, v2, s22, v4
	v_and_b32_e32 v6, 0x7f800000, v28
	v_cmp_ne_u64_e32 vcc, s[40:41], v[6:7]
	v_and_b32_e32 v6, 0x7fffffff, v28
	v_cmp_gt_u64_e64 s[0:1], s[42:43], v[6:7]
	v_or_b32_sdwa v4, v28, s76 dst_sel:DWORD dst_unused:UNUSED_PAD src0_sel:BYTE_3 src1_sel:DWORD
	s_and_b64 s[0:1], vcc, s[0:1]
	s_and_saveexec_b64 s[6:7], s[0:1]
	s_cbranch_execz .LBB0_50
; %bb.43:                               ;   in Loop: Header=BB0_26 Depth=2
	v_cmp_ne_u32_e32 vcc, 0, v28
	v_mov_b32_e32 v4, 0
	s_and_saveexec_b64 s[8:9], vcc
	s_cbranch_execz .LBB0_49
; %bb.44:                               ;   in Loop: Header=BB0_26 Depth=2
	v_bfe_u32 v3, v28, 23, 8
	v_sub_u32_e32 v6, 0x78, v3
	v_cmp_gt_u32_e32 vcc, s77, v3
	v_and_b32_e32 v2, 0x7fffff, v28
	v_cndmask_b32_e32 v6, 0, v6, vcc
	v_cmp_eq_u32_e32 vcc, 0, v3
	v_or_b32_e32 v29, 0x800000, v2
	v_cndmask_b32_e32 v39, v6, v34, vcc
	v_cndmask_b32_e32 v6, v29, v2, vcc
	v_add_u32_e32 v2, 20, v39
	v_add_u32_e32 v4, 0xffffff81, v3
	v_lshlrev_b64 v[2:3], v2, -1
	v_not_b32_e32 v2, v2
	v_lshrrev_b64 v[40:41], v39, v[6:7]
	v_cndmask_b32_e32 v4, v4, v33, vcc
	v_and_b32_e32 v2, v6, v2
	v_add_u32_e32 v29, 19, v39
	v_lshrrev_b32_e32 v6, 23, v40
	v_mov_b32_e32 v3, v7
	v_lshlrev_b64 v[30:31], v29, 1
	v_add3_u32 v29, v39, v4, v6
	v_bfe_u32 v4, v40, 20, 1
	v_add_u32_e32 v4, -1, v4
	v_cmp_eq_u64_e32 vcc, v[2:3], v[30:31]
	v_cndmask_b32_e32 v2, 0, v4, vcc
	v_add_u32_e32 v2, v2, v40
	v_and_b32_e32 v2, 0xfffff, v2
	v_add_co_u32_e32 v2, vcc, v2, v40
	v_add_u32_e32 v6, 7, v29
	v_addc_co_u32_e32 v3, vcc, 0, v41, vcc
	v_cmp_ne_u32_e32 vcc, 0, v6
                                        ; implicit-def: $vgpr4
	s_and_saveexec_b64 s[0:1], vcc
	s_xor_b64 s[0:1], exec, s[0:1]
; %bb.45:                               ;   in Loop: Header=BB0_26 Depth=2
	v_add_u32_e32 v4, 8, v29
	v_cmp_lt_u64_e32 vcc, s[44:45], v[2:3]
	v_cndmask_b32_e32 v4, v6, v4, vcc
	v_cndmask_b32_e64 v6, 0, 1, vcc
	v_lshrrev_b64 v[2:3], v6, v[2:3]
; %bb.46:                               ;   in Loop: Header=BB0_26 Depth=2
	s_andn2_saveexec_b64 s[0:1], s[0:1]
; %bb.47:                               ;   in Loop: Header=BB0_26 Depth=2
	v_bfe_u32 v4, v2, 23, 1
; %bb.48:                               ;   in Loop: Header=BB0_26 Depth=2
	s_or_b64 exec, exec, s[0:1]
	v_lshrrev_b64 v[2:3], 20, v[2:3]
	v_cmp_gt_i32_e32 vcc, 16, v4
	v_and_b32_sdwa v6, v28, s78 dst_sel:DWORD dst_unused:UNUSED_PAD src0_sel:BYTE_3 src1_sel:DWORD
	v_min_i32_e32 v28, 15, v4
	v_cndmask_b32_e32 v3, 0, v3, vcc
	v_cndmask_b32_e32 v2, 7, v2, vcc
	v_cmp_eq_u32_e32 vcc, 0, v4
	v_cmp_eq_u64_e64 s[0:1], 0, v[2:3]
	v_lshlrev_b32_e32 v3, 3, v28
	v_and_b32_e32 v2, 7, v2
	v_or3_b32 v2, v3, v6, v2
	s_and_b64 s[0:1], vcc, s[0:1]
	v_cndmask_b32_e64 v4, v2, 0, s[0:1]
.LBB0_49:                               ;   in Loop: Header=BB0_26 Depth=2
	s_or_b64 exec, exec, s[8:9]
.LBB0_50:                               ;   in Loop: Header=BB0_26 Depth=2
	s_or_b64 exec, exec, s[6:7]
	v_div_scale_f32 v2, s[0:1], s22, s22, v5
	v_rcp_f32_e32 v3, v2
	v_div_scale_f32 v6, vcc, v5, s22, v5
	v_fma_f32 v28, -v2, v3, 1.0
	v_fmac_f32_e32 v3, v28, v3
	v_mul_f32_e32 v28, v6, v3
	v_fma_f32 v29, -v2, v28, v6
	v_fmac_f32_e32 v28, v29, v3
	v_fma_f32 v2, -v2, v28, v6
	v_div_fmas_f32 v2, v2, v3, v28
	v_div_fixup_f32 v5, v2, s22, v5
	v_and_b32_e32 v6, 0x7f800000, v5
	v_cmp_ne_u64_e32 vcc, s[40:41], v[6:7]
	v_and_b32_e32 v6, 0x7fffffff, v5
	v_cmp_gt_u64_e64 s[0:1], s[42:43], v[6:7]
	v_or_b32_sdwa v2, v5, s76 dst_sel:DWORD dst_unused:UNUSED_PAD src0_sel:BYTE_3 src1_sel:DWORD
	s_and_b64 s[0:1], vcc, s[0:1]
	s_and_saveexec_b64 s[6:7], s[0:1]
	s_cbranch_execz .LBB0_25
; %bb.51:                               ;   in Loop: Header=BB0_26 Depth=2
	v_cmp_ne_u32_e32 vcc, 0, v5
	v_mov_b32_e32 v2, 0
	s_and_saveexec_b64 s[8:9], vcc
	s_cbranch_execz .LBB0_24
; %bb.52:                               ;   in Loop: Header=BB0_26 Depth=2
	v_bfe_u32 v3, v5, 23, 8
	v_sub_u32_e32 v28, 0x78, v3
	v_cmp_gt_u32_e32 vcc, s77, v3
	v_and_b32_e32 v2, 0x7fffff, v5
	v_cndmask_b32_e32 v28, 0, v28, vcc
	v_cmp_eq_u32_e32 vcc, 0, v3
	v_add_u32_e32 v6, 0xffffff81, v3
	v_or_b32_e32 v29, 0x800000, v2
	v_cndmask_b32_e32 v28, v28, v34, vcc
	v_cndmask_b32_e32 v39, v6, v33, vcc
	;; [unrolled: 1-line block ×3, first 2 shown]
	v_add_u32_e32 v2, 20, v28
	v_lshlrev_b64 v[2:3], v2, -1
	v_not_b32_e32 v2, v2
	v_lshrrev_b64 v[40:41], v28, v[6:7]
	v_and_b32_e32 v2, v6, v2
	v_add_u32_e32 v29, 19, v28
	v_lshrrev_b32_e32 v6, 23, v40
	v_mov_b32_e32 v3, v7
	v_lshlrev_b64 v[30:31], v29, 1
	v_add3_u32 v29, v28, v39, v6
	v_bfe_u32 v6, v40, 20, 1
	v_add_u32_e32 v6, -1, v6
	v_cmp_eq_u64_e32 vcc, v[2:3], v[30:31]
	v_cndmask_b32_e32 v2, 0, v6, vcc
	v_add_u32_e32 v2, v2, v40
	v_and_b32_e32 v2, 0xfffff, v2
	v_add_co_u32_e32 v2, vcc, v2, v40
	v_add_u32_e32 v28, 7, v29
	v_addc_co_u32_e32 v3, vcc, 0, v41, vcc
	v_cmp_ne_u32_e32 vcc, 0, v28
                                        ; implicit-def: $vgpr6
	s_and_saveexec_b64 s[0:1], vcc
	s_xor_b64 s[0:1], exec, s[0:1]
; %bb.53:                               ;   in Loop: Header=BB0_26 Depth=2
	v_add_u32_e32 v6, 8, v29
	v_cmp_lt_u64_e32 vcc, s[44:45], v[2:3]
	v_cndmask_b32_e32 v6, v28, v6, vcc
	v_cndmask_b32_e64 v28, 0, 1, vcc
	v_lshrrev_b64 v[2:3], v28, v[2:3]
; %bb.54:                               ;   in Loop: Header=BB0_26 Depth=2
	s_andn2_saveexec_b64 s[0:1], s[0:1]
	s_cbranch_execz .LBB0_23
; %bb.55:                               ;   in Loop: Header=BB0_26 Depth=2
	v_bfe_u32 v6, v2, 23, 1
	s_branch .LBB0_23
.LBB0_56:                               ;   in Loop: Header=BB0_7 Depth=1
	s_or_b64 exec, exec, s[2:3]
	v_lshlrev_b32_e32 v2, 2, v26
	v_cmp_lt_i32_e32 vcc, v2, v38
	s_and_saveexec_b64 s[16:17], vcc
	s_cbranch_execz .LBB0_74
; %bb.57:                               ;   in Loop: Header=BB0_7 Depth=1
	v_add_u32_e32 v3, v14, v2
	v_sub_u32_e32 v3, s21, v3
	v_cmp_lt_u32_e32 vcc, 1, v3
	s_mov_b64 s[0:1], -1
	s_and_saveexec_b64 s[46:47], vcc
	s_cbranch_execz .LBB0_61
; %bb.58:                               ;   in Loop: Header=BB0_7 Depth=1
	v_mov_b32_e32 v4, s55
	v_add_co_u32_e32 v5, vcc, s18, v13
	v_addc_co_u32_e32 v4, vcc, v4, v35, vcc
	v_add_co_u32_e32 v5, vcc, v5, v36
	v_addc_co_u32_e32 v4, vcc, v4, v37, vcc
	v_mov_b32_e32 v6, s56
	v_add_co_u32_e32 v5, vcc, s66, v5
	v_addc_co_u32_e32 v4, vcc, v4, v6, vcc
	v_add_co_u32_e32 v40, vcc, v5, v14
	v_and_b32_e32 v39, -2, v3
	v_addc_co_u32_e32 v41, vcc, v4, v15, vcc
	s_mov_b64 s[48:49], 0
	v_mov_b32_e32 v4, v2
	v_mov_b32_e32 v42, v39
.LBB0_59:                               ;   Parent Loop BB0_7 Depth=1
                                        ; =>  This Inner Loop Header: Depth=2
	v_ashrrev_i32_e32 v5, 31, v4
	v_lshlrev_b64 v[20:21], 2, v[4:5]
	v_add_co_u32_e32 v20, vcc, v18, v20
	v_addc_co_u32_e32 v21, vcc, v19, v21, vcc
	global_load_dwordx2 v[44:45], v[20:21], off
	v_add_co_u32_e32 v20, vcc, v40, v4
	v_addc_co_u32_e32 v21, vcc, v41, v5, vcc
	v_mov_b32_e32 v31, v7
	v_mov_b32_e32 v25, v7
	;; [unrolled: 1-line block ×5, first 2 shown]
	v_add_u32_e32 v42, -2, v42
	v_add_u32_e32 v4, 2, v4
	s_waitcnt vmcnt(0)
	v_div_scale_f32 v5, s[0:1], s67, s67, v44
	v_div_scale_f32 v22, s[0:1], s68, s68, v45
	v_rcp_f32_e32 v24, v5
	v_rcp_f32_e32 v26, v22
	v_div_scale_f32 v6, vcc, v44, s67, v44
	v_fma_f32 v30, -v5, v24, 1.0
	v_fma_f32 v43, -v22, v26, 1.0
	v_fmac_f32_e32 v24, v30, v24
	v_div_scale_f32 v28, s[0:1], v45, s68, v45
	v_fmac_f32_e32 v26, v43, v26
	v_mul_f32_e32 v30, v6, v24
	v_mul_f32_e32 v43, v28, v26
	v_fma_f32 v46, -v5, v30, v6
	v_fma_f32 v47, -v22, v43, v28
	v_fmac_f32_e32 v30, v46, v24
	v_fmac_f32_e32 v43, v47, v26
	v_fma_f32 v5, -v5, v30, v6
	v_fma_f32 v6, -v22, v43, v28
	v_div_fmas_f32 v5, v5, v24, v30
	s_mov_b64 vcc, s[0:1]
	v_div_fixup_f32 v5, v5, s67, v44
	v_div_fmas_f32 v6, v6, v26, v43
	v_div_fixup_f32 v22, v6, s68, v45
	v_and_b32_e32 v6, 0x7f800000, v5
	v_and_b32_e32 v30, 0x7fffffff, v5
	v_cmp_ne_u64_e64 s[2:3], s[40:41], v[6:7]
	v_cmp_gt_u64_e64 s[4:5], s[42:43], v[30:31]
	v_bfe_u32 v28, v5, 23, 8
	v_cmp_eq_u32_e64 s[0:1], 0, v5
	v_and_b32_e32 v24, 0x7f800000, v22
	v_and_b32_e32 v6, 0x7fffffff, v22
	s_and_b64 s[4:5], s[2:3], s[4:5]
	v_and_b32_e32 v26, 0x7fffff, v5
	v_and_b32_sdwa v43, v5, s78 dst_sel:DWORD dst_unused:UNUSED_PAD src0_sel:BYTE_3 src1_sel:DWORD
	v_cmp_ne_u32_e32 vcc, 0, v5
	v_or_b32_sdwa v5, v5, s76 dst_sel:DWORD dst_unused:UNUSED_PAD src0_sel:BYTE_3 src1_sel:DWORD
	v_bfe_u32 v45, v22, 23, 8
	v_sub_u32_e32 v31, 0x78, v28
	v_cmp_ne_u64_e64 s[10:11], s[40:41], v[24:25]
	v_cmp_gt_u64_e64 s[12:13], s[42:43], v[6:7]
	v_cmp_gt_u32_e64 s[2:3], s77, v28
	s_and_b64 s[0:1], s[4:5], s[0:1]
	v_cmp_eq_u32_e64 s[6:7], 0, v22
	v_add_u32_e32 v30, 0xffffff81, v28
	v_or_b32_e32 v46, 0x800000, v26
	v_sub_u32_e32 v24, 0x78, v45
	v_cndmask_b32_e64 v25, 0, v31, s[2:3]
	v_cmp_eq_u32_e64 s[2:3], 0, v28
	s_and_b64 s[10:11], s[10:11], s[12:13]
	v_cndmask_b32_e64 v5, v5, 0, s[0:1]
	v_cmp_gt_u32_e64 s[0:1], s77, v45
	v_and_b32_e32 v44, 0x7fffff, v22
	v_and_b32_sdwa v50, v22, s78 dst_sel:DWORD dst_unused:UNUSED_PAD src0_sel:BYTE_3 src1_sel:DWORD
	v_cmp_ne_u32_e64 s[8:9], 0, v22
	v_or_b32_sdwa v22, v22, s76 dst_sel:DWORD dst_unused:UNUSED_PAD src0_sel:BYTE_3 src1_sel:DWORD
	v_cndmask_b32_e64 v51, v30, v33, s[2:3]
	v_cndmask_b32_e64 v28, v46, v26, s[2:3]
	;; [unrolled: 1-line block ×3, first 2 shown]
	v_cmp_eq_u32_e64 s[0:1], 0, v45
	v_cndmask_b32_e64 v53, v25, v34, s[2:3]
	s_and_b64 s[2:3], s[10:11], s[6:7]
	v_add_u32_e32 v6, 0xffffff81, v45
	v_or_b32_e32 v31, 0x800000, v44
	v_cndmask_b32_e64 v54, v22, 0, s[2:3]
	v_cndmask_b32_e64 v55, v24, v34, s[0:1]
	v_add_u32_e32 v22, 20, v53
	v_cndmask_b32_e64 v52, v6, v33, s[0:1]
	v_cndmask_b32_e64 v6, v31, v44, s[0:1]
	v_add_u32_e32 v26, 19, v53
	v_lshrrev_b64 v[24:25], v53, v[28:29]
	v_add_u32_e32 v29, 20, v55
	v_lshlrev_b64 v[30:31], v22, -1
	v_add_u32_e32 v22, 19, v55
	v_lshlrev_b64 v[44:45], v26, 1
	v_lshlrev_b64 v[48:49], v29, -1
	v_not_b32_e32 v26, v30
	v_lshrrev_b64 v[46:47], v55, v[6:7]
	v_lshrrev_b32_e32 v56, 23, v24
	v_lshlrev_b64 v[30:31], v22, 1
	v_not_b32_e32 v29, v48
	v_and_b32_e32 v22, v28, v26
	v_bfe_u32 v49, v24, 20, 1
	v_and_b32_e32 v26, v6, v29
	v_add3_u32 v28, v53, v51, v56
	v_bfe_u32 v51, v46, 20, 1
	v_add_u32_e32 v49, -1, v49
	v_cmp_eq_u64_e64 s[0:1], v[22:23], v[44:45]
	v_add_u32_e32 v51, -1, v51
	v_cndmask_b32_e64 v22, 0, v49, s[0:1]
	v_cmp_eq_u64_e64 s[0:1], v[26:27], v[30:31]
	v_cndmask_b32_e64 v23, 0, v51, s[0:1]
	v_add_u32_e32 v23, v23, v46
	v_add_u32_e32 v22, v22, v24
	v_and_b32_e32 v26, 0xfffff, v22
	v_and_b32_e32 v22, 0xfffff, v23
	v_add_co_u32_e64 v22, s[0:1], v22, v46
	v_lshrrev_b32_e32 v6, 23, v46
	v_addc_co_u32_e64 v23, s[0:1], 0, v47, s[0:1]
	v_add3_u32 v6, v55, v52, v6
	v_add_co_u32_e64 v24, s[0:1], v26, v24
	v_add_u32_e32 v48, 7, v6
	v_addc_co_u32_e64 v25, s[0:1], 0, v25, s[0:1]
	s_and_b64 s[2:3], s[10:11], s[8:9]
	v_add_u32_e32 v29, 7, v28
	v_cmp_ne_u32_e64 s[0:1], 0, v48
	v_add_u32_e32 v6, 8, v6
	v_cmp_lt_u64_e64 s[8:9], s[44:45], v[22:23]
	s_and_b64 vcc, s[4:5], vcc
	v_cmp_ne_u32_e64 s[4:5], 0, v29
	v_add_u32_e32 v26, 8, v28
	v_cmp_lt_u64_e64 s[6:7], s[44:45], v[24:25]
	v_cndmask_b32_e64 v6, v48, v6, s[8:9]
	v_bfe_u32 v28, v22, 23, 1
	s_and_b64 s[0:1], s[2:3], s[0:1]
	v_cndmask_b32_e64 v26, v29, v26, s[6:7]
	v_bfe_u32 v27, v24, 23, 1
	v_cndmask_b32_e64 v6, v28, v6, s[0:1]
	s_and_b64 s[4:5], vcc, s[4:5]
	s_and_b64 s[0:1], s[0:1], s[8:9]
	v_cndmask_b32_e64 v26, v27, v26, s[4:5]
	s_and_b64 s[4:5], s[4:5], s[6:7]
	v_cndmask_b32_e64 v28, 0, 1, s[0:1]
	v_cndmask_b32_e64 v27, 0, 1, s[4:5]
	v_lshrrev_b64 v[22:23], v28, v[22:23]
	v_lshrrev_b64 v[24:25], v27, v[24:25]
	v_lshrrev_b64 v[22:23], 20, v[22:23]
	v_cmp_gt_i32_e64 s[0:1], 16, v6
	v_lshrrev_b64 v[24:25], 20, v[24:25]
	v_cndmask_b32_e64 v23, 0, v23, s[0:1]
	v_cndmask_b32_e64 v22, 7, v22, s[0:1]
	v_cmp_gt_i32_e64 s[0:1], 16, v26
	v_min_i32_e32 v27, 15, v26
	v_cndmask_b32_e64 v25, 0, v25, s[0:1]
	v_cndmask_b32_e64 v24, 7, v24, s[0:1]
	v_min_i32_e32 v28, 15, v6
	v_cmp_eq_u32_e64 s[0:1], 0, v26
	v_cmp_eq_u64_e64 s[6:7], 0, v[24:25]
	v_cmp_eq_u64_e64 s[8:9], 0, v[22:23]
	v_lshl_or_b32 v23, v27, 3, v43
	v_cmp_eq_u32_e64 s[4:5], 0, v6
	v_lshl_or_b32 v6, v28, 3, v50
	v_and_or_b32 v23, v24, 7, v23
	s_and_b64 s[0:1], s[0:1], s[6:7]
	v_and_or_b32 v6, v22, 7, v6
	v_cndmask_b32_e64 v22, v23, 0, s[0:1]
	s_and_b64 s[0:1], s[4:5], s[8:9]
	v_cndmask_b32_e64 v6, v6, 0, s[0:1]
	v_cndmask_b32_e64 v6, v54, v6, s[2:3]
	v_lshlrev_b16_e32 v6, 8, v6
	v_cndmask_b32_e32 v5, v5, v22, vcc
	v_cmp_eq_u32_e32 vcc, 0, v42
	v_or_b32_sdwa v5, v5, v6 dst_sel:DWORD dst_unused:UNUSED_PAD src0_sel:BYTE_0 src1_sel:DWORD
	s_or_b64 s[48:49], vcc, s[48:49]
	global_store_short v[20:21], v5, off
	s_andn2_b64 exec, exec, s[48:49]
	s_cbranch_execnz .LBB0_59
; %bb.60:                               ;   in Loop: Header=BB0_7 Depth=1
	s_or_b64 exec, exec, s[48:49]
	v_cmp_ne_u32_e32 vcc, v3, v39
	v_add_u32_e32 v2, v2, v39
	s_orn2_b64 s[0:1], vcc, exec
.LBB0_61:                               ;   in Loop: Header=BB0_7 Depth=1
	s_or_b64 exec, exec, s[46:47]
	s_and_b64 exec, exec, s[0:1]
	s_cbranch_execz .LBB0_74
; %bb.62:                               ;   in Loop: Header=BB0_7 Depth=1
	v_ashrrev_i32_e32 v3, 31, v2
	v_lshlrev_b64 v[4:5], 2, v[2:3]
	v_add_co_u32_e32 v4, vcc, v16, v4
	v_addc_co_u32_e32 v5, vcc, v17, v5, vcc
	v_add_co_u32_e32 v4, vcc, v4, v10
	v_addc_co_u32_e32 v5, vcc, v5, v11, vcc
	;; [unrolled: 2-line block ×3, first 2 shown]
	v_mov_b32_e32 v6, s54
	v_add_co_u32_e32 v4, vcc, s53, v4
	v_addc_co_u32_e32 v5, vcc, v6, v5, vcc
	v_add_co_u32_e32 v6, vcc, v14, v2
	v_addc_co_u32_e32 v3, vcc, v15, v3, vcc
	;; [unrolled: 2-line block ×4, first 2 shown]
	v_mov_b32_e32 v15, s73
	v_add_co_u32_e32 v14, vcc, s72, v6
	v_addc_co_u32_e32 v15, vcc, v15, v3, vcc
	s_mov_b64 s[2:3], 0
	s_branch .LBB0_67
.LBB0_63:                               ;   in Loop: Header=BB0_67 Depth=2
	s_or_b64 exec, exec, s[0:1]
	v_lshrrev_b64 v[16:17], 20, v[16:17]
	v_cmp_gt_i32_e32 vcc, 16, v6
	v_and_b32_sdwa v3, v3, s78 dst_sel:DWORD dst_unused:UNUSED_PAD src0_sel:BYTE_3 src1_sel:DWORD
	v_min_i32_e32 v18, 15, v6
	v_cndmask_b32_e32 v17, 0, v17, vcc
	v_cndmask_b32_e32 v16, 7, v16, vcc
	v_cmp_eq_u32_e32 vcc, 0, v6
	v_cmp_eq_u64_e64 s[0:1], 0, v[16:17]
	v_lshl_or_b32 v3, v18, 3, v3
	v_and_or_b32 v3, v16, 7, v3
	s_and_b64 s[0:1], vcc, s[0:1]
	v_cndmask_b32_e64 v16, v3, 0, s[0:1]
.LBB0_64:                               ;   in Loop: Header=BB0_67 Depth=2
	s_or_b64 exec, exec, s[8:9]
.LBB0_65:                               ;   in Loop: Header=BB0_67 Depth=2
	s_andn2_saveexec_b64 s[0:1], s[6:7]
	s_or_b64 exec, exec, s[0:1]
.LBB0_66:                               ;   in Loop: Header=BB0_67 Depth=2
	s_andn2_saveexec_b64 s[0:1], s[4:5]
	s_or_b64 exec, exec, s[0:1]
	v_add_co_u32_e32 v4, vcc, 4, v4
	v_add_u32_e32 v2, 1, v2
	v_addc_co_u32_e32 v5, vcc, 0, v5, vcc
	v_cmp_ge_i32_e32 vcc, v2, v38
	global_store_byte v[14:15], v16, off
	s_or_b64 s[2:3], vcc, s[2:3]
	v_add_co_u32_e32 v14, vcc, 1, v14
	v_addc_co_u32_e32 v15, vcc, 0, v15, vcc
	s_andn2_b64 exec, exec, s[2:3]
	s_cbranch_execz .LBB0_74
.LBB0_67:                               ;   Parent Loop BB0_7 Depth=1
                                        ; =>  This Inner Loop Header: Depth=2
	global_load_dword v3, v[4:5], off
	s_waitcnt vmcnt(0)
	v_div_scale_f32 v6, s[0:1], s22, s22, v3
	v_rcp_f32_e32 v16, v6
	v_div_scale_f32 v17, vcc, v3, s22, v3
	v_fma_f32 v18, -v6, v16, 1.0
	v_fmac_f32_e32 v16, v18, v16
	v_mul_f32_e32 v18, v17, v16
	v_fma_f32 v19, -v6, v18, v17
	v_fmac_f32_e32 v18, v19, v16
	v_fma_f32 v6, -v6, v18, v17
	v_div_fmas_f32 v6, v6, v16, v18
	v_div_fixup_f32 v3, v6, s22, v3
	v_and_b32_e32 v6, 0x7f800000, v3
	v_or_b32_sdwa v16, v3, s76 dst_sel:DWORD dst_unused:UNUSED_PAD src0_sel:BYTE_3 src1_sel:DWORD
	v_cmp_ne_u64_e32 vcc, s[40:41], v[6:7]
	s_and_saveexec_b64 s[0:1], vcc
	s_xor_b64 s[4:5], exec, s[0:1]
	s_cbranch_execz .LBB0_66
; %bb.68:                               ;   in Loop: Header=BB0_67 Depth=2
	v_and_b32_e32 v6, 0x7fffffff, v3
	v_cmp_gt_u64_e32 vcc, s[42:43], v[6:7]
	s_and_saveexec_b64 s[0:1], vcc
	s_xor_b64 s[6:7], exec, s[0:1]
	s_cbranch_execz .LBB0_65
; %bb.69:                               ;   in Loop: Header=BB0_67 Depth=2
	v_cmp_ne_u32_e32 vcc, 0, v3
	v_mov_b32_e32 v16, 0
	s_and_saveexec_b64 s[8:9], vcc
	s_cbranch_execz .LBB0_64
; %bb.70:                               ;   in Loop: Header=BB0_67 Depth=2
	v_bfe_u32 v16, v3, 23, 8
	v_sub_u32_e32 v18, 0x78, v16
	v_cmp_gt_u32_e32 vcc, s77, v16
	v_cndmask_b32_e32 v18, 0, v18, vcc
	v_cmp_eq_u32_e32 vcc, 0, v16
	v_and_b32_e32 v6, 0x7fffff, v3
	v_cndmask_b32_e32 v18, v18, v34, vcc
	v_add_u32_e32 v17, 0xffffff81, v16
	v_or_b32_e32 v19, 0x800000, v6
	v_add_u32_e32 v16, 20, v18
	v_cndmask_b32_e32 v24, v17, v33, vcc
	v_cndmask_b32_e32 v6, v19, v6, vcc
	v_lshlrev_b64 v[16:17], v16, -1
	v_not_b32_e32 v16, v16
	v_lshrrev_b64 v[22:23], v18, v[6:7]
	v_and_b32_e32 v16, v6, v16
	v_add_u32_e32 v19, 19, v18
	v_lshrrev_b32_e32 v6, 23, v22
	v_mov_b32_e32 v17, v7
	v_lshlrev_b64 v[20:21], v19, 1
	v_add3_u32 v19, v18, v24, v6
	v_bfe_u32 v6, v22, 20, 1
	v_add_u32_e32 v6, -1, v6
	v_cmp_eq_u64_e32 vcc, v[16:17], v[20:21]
	v_cndmask_b32_e32 v6, 0, v6, vcc
	v_add_u32_e32 v6, v6, v22
	v_and_b32_e32 v6, 0xfffff, v6
	v_add_co_u32_e32 v16, vcc, v6, v22
	v_add_u32_e32 v18, 7, v19
	v_addc_co_u32_e32 v17, vcc, 0, v23, vcc
	v_cmp_ne_u32_e32 vcc, 0, v18
                                        ; implicit-def: $vgpr6
	s_and_saveexec_b64 s[0:1], vcc
	s_xor_b64 s[0:1], exec, s[0:1]
; %bb.71:                               ;   in Loop: Header=BB0_67 Depth=2
	v_add_u32_e32 v6, 8, v19
	v_cmp_lt_u64_e32 vcc, s[44:45], v[16:17]
	v_cndmask_b32_e32 v6, v18, v6, vcc
	v_cndmask_b32_e64 v18, 0, 1, vcc
	v_lshrrev_b64 v[16:17], v18, v[16:17]
; %bb.72:                               ;   in Loop: Header=BB0_67 Depth=2
	s_andn2_saveexec_b64 s[0:1], s[0:1]
	s_cbranch_execz .LBB0_63
; %bb.73:                               ;   in Loop: Header=BB0_67 Depth=2
	v_bfe_u32 v6, v16, 23, 1
	s_branch .LBB0_63
.LBB0_74:                               ;   in Loop: Header=BB0_7 Depth=1
	s_or_b64 exec, exec, s[16:17]
                                        ; implicit-def: $vgpr36
                                        ; implicit-def: $vgpr37
.LBB0_75:                               ;   in Loop: Header=BB0_7 Depth=1
	s_andn2_saveexec_b64 s[2:3], s[14:15]
	s_cbranch_execz .LBB0_111
; %bb.76:                               ;   in Loop: Header=BB0_7 Depth=1
	s_andn2_b64 vcc, exec, s[26:27]
	s_cbranch_vccnz .LBB0_111
; %bb.77:                               ;   in Loop: Header=BB0_7 Depth=1
	v_add_co_u32_e32 v2, vcc, v13, v36
	v_addc_co_u32_e32 v3, vcc, v35, v37, vcc
	v_mov_b32_e32 v4, s73
	v_add_co_u32_e32 v14, vcc, s72, v2
	v_addc_co_u32_e32 v15, vcc, v4, v3, vcc
	v_add_co_u32_e32 v2, vcc, v10, v8
	v_addc_co_u32_e32 v3, vcc, v11, v9, vcc
	v_mov_b32_e32 v4, s75
	v_add_co_u32_e32 v16, vcc, s74, v2
	v_addc_co_u32_e32 v17, vcc, v4, v3, vcc
	s_mov_b32 s8, s57
	s_branch .LBB0_81
.LBB0_78:                               ;   in Loop: Header=BB0_81 Depth=2
	s_or_b64 exec, exec, s[0:1]
	v_lshrrev_b64 v[2:3], 20, v[2:3]
	v_cmp_gt_i32_e32 vcc, 16, v6
	v_min_i32_e32 v20, 15, v6
	v_cndmask_b32_e32 v3, 0, v3, vcc
	v_cndmask_b32_e32 v2, 7, v2, vcc
	v_and_b32_sdwa v5, v5, s78 dst_sel:DWORD dst_unused:UNUSED_PAD src0_sel:BYTE_3 src1_sel:DWORD
	v_cmp_eq_u32_e32 vcc, 0, v6
	v_cmp_eq_u64_e64 s[0:1], 0, v[2:3]
	v_lshlrev_b32_e32 v3, 3, v20
	v_and_b32_e32 v2, 7, v2
	v_or3_b32 v2, v3, v5, v2
	s_and_b64 s[0:1], vcc, s[0:1]
	v_cndmask_b32_e64 v2, v2, 0, s[0:1]
.LBB0_79:                               ;   in Loop: Header=BB0_81 Depth=2
	s_or_b64 exec, exec, s[6:7]
.LBB0_80:                               ;   in Loop: Header=BB0_81 Depth=2
	s_or_b64 exec, exec, s[4:5]
	v_lshlrev_b32_e32 v3, 16, v4
	v_perm_b32 v2, v2, v3, s79
	v_lshlrev_b32_e32 v3, 8, v19
	v_and_b32_e32 v3, 0xff00, v3
	v_and_b32_e32 v4, 0xff, v18
	v_or3_b32 v2, v2, v3, v4
	global_store_dword v[14:15], v2, off
	v_add_co_u32_e32 v14, vcc, 4, v14
	v_addc_co_u32_e32 v15, vcc, 0, v15, vcc
	s_add_i32 s8, s8, -1
	v_add_co_u32_e32 v16, vcc, 16, v16
	s_cmp_eq_u32 s8, 0
	v_addc_co_u32_e32 v17, vcc, 0, v17, vcc
	s_cbranch_scc1 .LBB0_111
.LBB0_81:                               ;   Parent Loop BB0_7 Depth=1
                                        ; =>  This Inner Loop Header: Depth=2
	global_load_dwordx4 v[2:5], v[16:17], off offset:-8
	s_waitcnt vmcnt(0)
	v_div_scale_f32 v6, s[0:1], s22, s22, v2
	v_rcp_f32_e32 v18, v6
	v_div_scale_f32 v19, vcc, v2, s22, v2
	v_fma_f32 v20, -v6, v18, 1.0
	v_fmac_f32_e32 v18, v20, v18
	v_mul_f32_e32 v20, v19, v18
	v_fma_f32 v21, -v6, v20, v19
	v_fmac_f32_e32 v20, v21, v18
	v_fma_f32 v6, -v6, v20, v19
	v_div_fmas_f32 v6, v6, v18, v20
	v_div_fixup_f32 v2, v6, s22, v2
	v_and_b32_e32 v6, 0x7f800000, v2
	v_cmp_ne_u64_e32 vcc, s[40:41], v[6:7]
	v_and_b32_e32 v6, 0x7fffffff, v2
	v_cmp_gt_u64_e64 s[0:1], s[42:43], v[6:7]
	v_or_b32_sdwa v18, v2, s76 dst_sel:DWORD dst_unused:UNUSED_PAD src0_sel:BYTE_3 src1_sel:DWORD
	s_and_b64 s[0:1], vcc, s[0:1]
	s_and_saveexec_b64 s[4:5], s[0:1]
	s_cbranch_execz .LBB0_89
; %bb.82:                               ;   in Loop: Header=BB0_81 Depth=2
	v_cmp_ne_u32_e32 vcc, 0, v2
	v_mov_b32_e32 v18, 0
	s_and_saveexec_b64 s[6:7], vcc
	s_cbranch_execz .LBB0_88
; %bb.83:                               ;   in Loop: Header=BB0_81 Depth=2
	v_bfe_u32 v18, v2, 23, 8
	v_sub_u32_e32 v20, 0x78, v18
	v_cmp_gt_u32_e32 vcc, s77, v18
	v_cndmask_b32_e32 v20, 0, v20, vcc
	v_cmp_eq_u32_e32 vcc, 0, v18
	v_and_b32_e32 v6, 0x7fffff, v2
	v_cndmask_b32_e32 v20, v20, v34, vcc
	v_add_u32_e32 v19, 0xffffff81, v18
	v_or_b32_e32 v21, 0x800000, v6
	v_add_u32_e32 v18, 20, v20
	v_cndmask_b32_e32 v26, v19, v33, vcc
	v_cndmask_b32_e32 v6, v21, v6, vcc
	v_lshlrev_b64 v[18:19], v18, -1
	v_not_b32_e32 v18, v18
	v_lshrrev_b64 v[24:25], v20, v[6:7]
	v_and_b32_e32 v18, v6, v18
	v_add_u32_e32 v21, 19, v20
	v_lshrrev_b32_e32 v6, 23, v24
	v_mov_b32_e32 v19, v7
	v_lshlrev_b64 v[22:23], v21, 1
	v_add3_u32 v21, v20, v26, v6
	v_bfe_u32 v6, v24, 20, 1
	v_add_u32_e32 v6, -1, v6
	v_cmp_eq_u64_e32 vcc, v[18:19], v[22:23]
	v_cndmask_b32_e32 v6, 0, v6, vcc
	v_add_u32_e32 v6, v6, v24
	v_and_b32_e32 v6, 0xfffff, v6
	v_add_co_u32_e32 v18, vcc, v6, v24
	v_add_u32_e32 v20, 7, v21
	v_addc_co_u32_e32 v19, vcc, 0, v25, vcc
	v_cmp_ne_u32_e32 vcc, 0, v20
                                        ; implicit-def: $vgpr6
	s_and_saveexec_b64 s[0:1], vcc
	s_xor_b64 s[0:1], exec, s[0:1]
; %bb.84:                               ;   in Loop: Header=BB0_81 Depth=2
	v_add_u32_e32 v6, 8, v21
	v_cmp_lt_u64_e32 vcc, s[44:45], v[18:19]
	v_cndmask_b32_e32 v6, v20, v6, vcc
	v_cndmask_b32_e64 v20, 0, 1, vcc
	v_lshrrev_b64 v[18:19], v20, v[18:19]
; %bb.85:                               ;   in Loop: Header=BB0_81 Depth=2
	s_andn2_saveexec_b64 s[0:1], s[0:1]
; %bb.86:                               ;   in Loop: Header=BB0_81 Depth=2
	v_bfe_u32 v6, v18, 23, 1
; %bb.87:                               ;   in Loop: Header=BB0_81 Depth=2
	s_or_b64 exec, exec, s[0:1]
	v_lshrrev_b64 v[18:19], 20, v[18:19]
	v_cmp_gt_i32_e32 vcc, 16, v6
	v_min_i32_e32 v20, 15, v6
	v_cndmask_b32_e32 v19, 0, v19, vcc
	v_cndmask_b32_e32 v18, 7, v18, vcc
	v_and_b32_sdwa v2, v2, s78 dst_sel:DWORD dst_unused:UNUSED_PAD src0_sel:BYTE_3 src1_sel:DWORD
	v_cmp_eq_u32_e32 vcc, 0, v6
	v_cmp_eq_u64_e64 s[0:1], 0, v[18:19]
	v_lshlrev_b32_e32 v6, 3, v20
	v_and_b32_e32 v18, 7, v18
	v_or3_b32 v2, v6, v2, v18
	s_and_b64 s[0:1], vcc, s[0:1]
	v_cndmask_b32_e64 v18, v2, 0, s[0:1]
.LBB0_88:                               ;   in Loop: Header=BB0_81 Depth=2
	s_or_b64 exec, exec, s[6:7]
.LBB0_89:                               ;   in Loop: Header=BB0_81 Depth=2
	s_or_b64 exec, exec, s[4:5]
	v_div_scale_f32 v2, s[0:1], s22, s22, v3
	v_rcp_f32_e32 v6, v2
	v_div_scale_f32 v19, vcc, v3, s22, v3
	v_fma_f32 v20, -v2, v6, 1.0
	v_fmac_f32_e32 v6, v20, v6
	v_mul_f32_e32 v20, v19, v6
	v_fma_f32 v21, -v2, v20, v19
	v_fmac_f32_e32 v20, v21, v6
	v_fma_f32 v2, -v2, v20, v19
	v_div_fmas_f32 v2, v2, v6, v20
	v_div_fixup_f32 v20, v2, s22, v3
	v_and_b32_e32 v6, 0x7f800000, v20
	v_cmp_ne_u64_e32 vcc, s[40:41], v[6:7]
	v_and_b32_e32 v6, 0x7fffffff, v20
	v_cmp_gt_u64_e64 s[0:1], s[42:43], v[6:7]
	v_or_b32_sdwa v19, v20, s76 dst_sel:DWORD dst_unused:UNUSED_PAD src0_sel:BYTE_3 src1_sel:DWORD
	s_and_b64 s[0:1], vcc, s[0:1]
	s_and_saveexec_b64 s[4:5], s[0:1]
	s_cbranch_execz .LBB0_97
; %bb.90:                               ;   in Loop: Header=BB0_81 Depth=2
	v_cmp_ne_u32_e32 vcc, 0, v20
	v_mov_b32_e32 v19, 0
	s_and_saveexec_b64 s[6:7], vcc
	s_cbranch_execz .LBB0_96
; %bb.91:                               ;   in Loop: Header=BB0_81 Depth=2
	v_bfe_u32 v3, v20, 23, 8
	v_sub_u32_e32 v19, 0x78, v3
	v_cmp_gt_u32_e32 vcc, s77, v3
	v_and_b32_e32 v2, 0x7fffff, v20
	v_cndmask_b32_e32 v19, 0, v19, vcc
	v_cmp_eq_u32_e32 vcc, 0, v3
	v_add_u32_e32 v6, 0xffffff81, v3
	v_or_b32_e32 v21, 0x800000, v2
	v_cndmask_b32_e32 v19, v19, v34, vcc
	v_cndmask_b32_e32 v26, v6, v33, vcc
	;; [unrolled: 1-line block ×3, first 2 shown]
	v_add_u32_e32 v2, 20, v19
	v_lshlrev_b64 v[2:3], v2, -1
	v_not_b32_e32 v2, v2
	v_lshrrev_b64 v[24:25], v19, v[6:7]
	v_and_b32_e32 v2, v6, v2
	v_add_u32_e32 v21, 19, v19
	v_lshrrev_b32_e32 v6, 23, v24
	v_mov_b32_e32 v3, v7
	v_lshlrev_b64 v[22:23], v21, 1
	v_add3_u32 v21, v19, v26, v6
	v_bfe_u32 v6, v24, 20, 1
	v_add_u32_e32 v6, -1, v6
	v_cmp_eq_u64_e32 vcc, v[2:3], v[22:23]
	v_cndmask_b32_e32 v2, 0, v6, vcc
	v_add_u32_e32 v2, v2, v24
	v_and_b32_e32 v2, 0xfffff, v2
	v_add_co_u32_e32 v2, vcc, v2, v24
	v_add_u32_e32 v19, 7, v21
	v_addc_co_u32_e32 v3, vcc, 0, v25, vcc
	v_cmp_ne_u32_e32 vcc, 0, v19
                                        ; implicit-def: $vgpr6
	s_and_saveexec_b64 s[0:1], vcc
	s_xor_b64 s[0:1], exec, s[0:1]
; %bb.92:                               ;   in Loop: Header=BB0_81 Depth=2
	v_add_u32_e32 v6, 8, v21
	v_cmp_lt_u64_e32 vcc, s[44:45], v[2:3]
	v_cndmask_b32_e32 v6, v19, v6, vcc
	v_cndmask_b32_e64 v19, 0, 1, vcc
	v_lshrrev_b64 v[2:3], v19, v[2:3]
; %bb.93:                               ;   in Loop: Header=BB0_81 Depth=2
	s_andn2_saveexec_b64 s[0:1], s[0:1]
; %bb.94:                               ;   in Loop: Header=BB0_81 Depth=2
	v_bfe_u32 v6, v2, 23, 1
; %bb.95:                               ;   in Loop: Header=BB0_81 Depth=2
	s_or_b64 exec, exec, s[0:1]
	v_lshrrev_b64 v[2:3], 20, v[2:3]
	v_cmp_gt_i32_e32 vcc, 16, v6
	v_and_b32_sdwa v19, v20, s78 dst_sel:DWORD dst_unused:UNUSED_PAD src0_sel:BYTE_3 src1_sel:DWORD
	v_min_i32_e32 v20, 15, v6
	v_cndmask_b32_e32 v3, 0, v3, vcc
	v_cndmask_b32_e32 v2, 7, v2, vcc
	v_cmp_eq_u32_e32 vcc, 0, v6
	v_cmp_eq_u64_e64 s[0:1], 0, v[2:3]
	v_lshlrev_b32_e32 v3, 3, v20
	v_and_b32_e32 v2, 7, v2
	v_or3_b32 v2, v3, v19, v2
	s_and_b64 s[0:1], vcc, s[0:1]
	v_cndmask_b32_e64 v19, v2, 0, s[0:1]
.LBB0_96:                               ;   in Loop: Header=BB0_81 Depth=2
	s_or_b64 exec, exec, s[6:7]
.LBB0_97:                               ;   in Loop: Header=BB0_81 Depth=2
	s_or_b64 exec, exec, s[4:5]
	v_div_scale_f32 v2, s[0:1], s22, s22, v4
	v_rcp_f32_e32 v3, v2
	v_div_scale_f32 v6, vcc, v4, s22, v4
	v_fma_f32 v20, -v2, v3, 1.0
	v_fmac_f32_e32 v3, v20, v3
	v_mul_f32_e32 v20, v6, v3
	v_fma_f32 v21, -v2, v20, v6
	v_fmac_f32_e32 v20, v21, v3
	v_fma_f32 v2, -v2, v20, v6
	v_div_fmas_f32 v2, v2, v3, v20
	v_div_fixup_f32 v20, v2, s22, v4
	v_and_b32_e32 v6, 0x7f800000, v20
	v_cmp_ne_u64_e32 vcc, s[40:41], v[6:7]
	v_and_b32_e32 v6, 0x7fffffff, v20
	v_cmp_gt_u64_e64 s[0:1], s[42:43], v[6:7]
	v_or_b32_sdwa v4, v20, s76 dst_sel:DWORD dst_unused:UNUSED_PAD src0_sel:BYTE_3 src1_sel:DWORD
	s_and_b64 s[0:1], vcc, s[0:1]
	s_and_saveexec_b64 s[4:5], s[0:1]
	s_cbranch_execz .LBB0_105
; %bb.98:                               ;   in Loop: Header=BB0_81 Depth=2
	v_cmp_ne_u32_e32 vcc, 0, v20
	v_mov_b32_e32 v4, 0
	s_and_saveexec_b64 s[6:7], vcc
	s_cbranch_execz .LBB0_104
; %bb.99:                               ;   in Loop: Header=BB0_81 Depth=2
	v_bfe_u32 v3, v20, 23, 8
	v_sub_u32_e32 v6, 0x78, v3
	v_cmp_gt_u32_e32 vcc, s77, v3
	v_and_b32_e32 v2, 0x7fffff, v20
	v_cndmask_b32_e32 v6, 0, v6, vcc
	v_cmp_eq_u32_e32 vcc, 0, v3
	v_or_b32_e32 v21, 0x800000, v2
	v_cndmask_b32_e32 v26, v6, v34, vcc
	v_cndmask_b32_e32 v6, v21, v2, vcc
	v_add_u32_e32 v2, 20, v26
	v_add_u32_e32 v4, 0xffffff81, v3
	v_lshlrev_b64 v[2:3], v2, -1
	v_not_b32_e32 v2, v2
	v_lshrrev_b64 v[24:25], v26, v[6:7]
	v_cndmask_b32_e32 v4, v4, v33, vcc
	v_and_b32_e32 v2, v6, v2
	v_add_u32_e32 v21, 19, v26
	v_lshrrev_b32_e32 v6, 23, v24
	v_mov_b32_e32 v3, v7
	v_lshlrev_b64 v[22:23], v21, 1
	v_add3_u32 v21, v26, v4, v6
	v_bfe_u32 v4, v24, 20, 1
	v_add_u32_e32 v4, -1, v4
	v_cmp_eq_u64_e32 vcc, v[2:3], v[22:23]
	v_cndmask_b32_e32 v2, 0, v4, vcc
	v_add_u32_e32 v2, v2, v24
	v_and_b32_e32 v2, 0xfffff, v2
	v_add_co_u32_e32 v2, vcc, v2, v24
	v_add_u32_e32 v6, 7, v21
	v_addc_co_u32_e32 v3, vcc, 0, v25, vcc
	v_cmp_ne_u32_e32 vcc, 0, v6
                                        ; implicit-def: $vgpr4
	s_and_saveexec_b64 s[0:1], vcc
	s_xor_b64 s[0:1], exec, s[0:1]
; %bb.100:                              ;   in Loop: Header=BB0_81 Depth=2
	v_add_u32_e32 v4, 8, v21
	v_cmp_lt_u64_e32 vcc, s[44:45], v[2:3]
	v_cndmask_b32_e32 v4, v6, v4, vcc
	v_cndmask_b32_e64 v6, 0, 1, vcc
	v_lshrrev_b64 v[2:3], v6, v[2:3]
; %bb.101:                              ;   in Loop: Header=BB0_81 Depth=2
	s_andn2_saveexec_b64 s[0:1], s[0:1]
; %bb.102:                              ;   in Loop: Header=BB0_81 Depth=2
	v_bfe_u32 v4, v2, 23, 1
; %bb.103:                              ;   in Loop: Header=BB0_81 Depth=2
	s_or_b64 exec, exec, s[0:1]
	v_lshrrev_b64 v[2:3], 20, v[2:3]
	v_cmp_gt_i32_e32 vcc, 16, v4
	v_and_b32_sdwa v6, v20, s78 dst_sel:DWORD dst_unused:UNUSED_PAD src0_sel:BYTE_3 src1_sel:DWORD
	v_min_i32_e32 v20, 15, v4
	v_cndmask_b32_e32 v3, 0, v3, vcc
	v_cndmask_b32_e32 v2, 7, v2, vcc
	v_cmp_eq_u32_e32 vcc, 0, v4
	v_cmp_eq_u64_e64 s[0:1], 0, v[2:3]
	v_lshlrev_b32_e32 v3, 3, v20
	v_and_b32_e32 v2, 7, v2
	v_or3_b32 v2, v3, v6, v2
	s_and_b64 s[0:1], vcc, s[0:1]
	v_cndmask_b32_e64 v4, v2, 0, s[0:1]
.LBB0_104:                              ;   in Loop: Header=BB0_81 Depth=2
	s_or_b64 exec, exec, s[6:7]
.LBB0_105:                              ;   in Loop: Header=BB0_81 Depth=2
	s_or_b64 exec, exec, s[4:5]
	v_div_scale_f32 v2, s[0:1], s22, s22, v5
	v_rcp_f32_e32 v3, v2
	v_div_scale_f32 v6, vcc, v5, s22, v5
	v_fma_f32 v20, -v2, v3, 1.0
	v_fmac_f32_e32 v3, v20, v3
	v_mul_f32_e32 v20, v6, v3
	v_fma_f32 v21, -v2, v20, v6
	v_fmac_f32_e32 v20, v21, v3
	v_fma_f32 v2, -v2, v20, v6
	v_div_fmas_f32 v2, v2, v3, v20
	v_div_fixup_f32 v5, v2, s22, v5
	v_and_b32_e32 v6, 0x7f800000, v5
	v_cmp_ne_u64_e32 vcc, s[40:41], v[6:7]
	v_and_b32_e32 v6, 0x7fffffff, v5
	v_cmp_gt_u64_e64 s[0:1], s[42:43], v[6:7]
	v_or_b32_sdwa v2, v5, s76 dst_sel:DWORD dst_unused:UNUSED_PAD src0_sel:BYTE_3 src1_sel:DWORD
	s_and_b64 s[0:1], vcc, s[0:1]
	s_and_saveexec_b64 s[4:5], s[0:1]
	s_cbranch_execz .LBB0_80
; %bb.106:                              ;   in Loop: Header=BB0_81 Depth=2
	v_cmp_ne_u32_e32 vcc, 0, v5
	v_mov_b32_e32 v2, 0
	s_and_saveexec_b64 s[6:7], vcc
	s_cbranch_execz .LBB0_79
; %bb.107:                              ;   in Loop: Header=BB0_81 Depth=2
	v_bfe_u32 v3, v5, 23, 8
	v_sub_u32_e32 v20, 0x78, v3
	v_cmp_gt_u32_e32 vcc, s77, v3
	v_and_b32_e32 v2, 0x7fffff, v5
	v_cndmask_b32_e32 v20, 0, v20, vcc
	v_cmp_eq_u32_e32 vcc, 0, v3
	v_add_u32_e32 v6, 0xffffff81, v3
	v_or_b32_e32 v21, 0x800000, v2
	v_cndmask_b32_e32 v20, v20, v34, vcc
	v_cndmask_b32_e32 v26, v6, v33, vcc
	;; [unrolled: 1-line block ×3, first 2 shown]
	v_add_u32_e32 v2, 20, v20
	v_lshlrev_b64 v[2:3], v2, -1
	v_not_b32_e32 v2, v2
	v_lshrrev_b64 v[24:25], v20, v[6:7]
	v_and_b32_e32 v2, v6, v2
	v_add_u32_e32 v21, 19, v20
	v_lshrrev_b32_e32 v6, 23, v24
	v_mov_b32_e32 v3, v7
	v_lshlrev_b64 v[22:23], v21, 1
	v_add3_u32 v21, v20, v26, v6
	v_bfe_u32 v6, v24, 20, 1
	v_add_u32_e32 v6, -1, v6
	v_cmp_eq_u64_e32 vcc, v[2:3], v[22:23]
	v_cndmask_b32_e32 v2, 0, v6, vcc
	v_add_u32_e32 v2, v2, v24
	v_and_b32_e32 v2, 0xfffff, v2
	v_add_co_u32_e32 v2, vcc, v2, v24
	v_add_u32_e32 v20, 7, v21
	v_addc_co_u32_e32 v3, vcc, 0, v25, vcc
	v_cmp_ne_u32_e32 vcc, 0, v20
                                        ; implicit-def: $vgpr6
	s_and_saveexec_b64 s[0:1], vcc
	s_xor_b64 s[0:1], exec, s[0:1]
; %bb.108:                              ;   in Loop: Header=BB0_81 Depth=2
	v_add_u32_e32 v6, 8, v21
	v_cmp_lt_u64_e32 vcc, s[44:45], v[2:3]
	v_cndmask_b32_e32 v6, v20, v6, vcc
	v_cndmask_b32_e64 v20, 0, 1, vcc
	v_lshrrev_b64 v[2:3], v20, v[2:3]
; %bb.109:                              ;   in Loop: Header=BB0_81 Depth=2
	s_andn2_saveexec_b64 s[0:1], s[0:1]
	s_cbranch_execz .LBB0_78
; %bb.110:                              ;   in Loop: Header=BB0_81 Depth=2
	v_bfe_u32 v6, v2, 23, 1
	s_branch .LBB0_78
.LBB0_111:                              ;   in Loop: Header=BB0_7 Depth=1
	s_or_b64 exec, exec, s[2:3]
	s_andn2_b64 vcc, exec, s[28:29]
	s_cbranch_vccnz .LBB0_6
; %bb.112:                              ;   in Loop: Header=BB0_7 Depth=1
	v_mov_b32_e32 v4, s61
	v_add_co_u32_e32 v5, vcc, s60, v13
	v_mul_lo_u32 v2, v12, s20
	v_addc_co_u32_e32 v4, vcc, v4, v35, vcc
	v_ashrrev_i32_e32 v3, 31, v2
	v_add_co_u32_e32 v2, vcc, v5, v2
	v_addc_co_u32_e32 v3, vcc, v4, v3, vcc
	v_mov_b32_e32 v4, s52
	v_add_co_u32_e64 v24, s[0:1], s51, v2
	s_andn2_b64 vcc, exec, s[30:31]
	v_addc_co_u32_e64 v25, s[0:1], v3, v4, s[0:1]
	s_cbranch_vccnz .LBB0_116
; %bb.113:                              ;   in Loop: Header=BB0_7 Depth=1
	v_mov_b32_e32 v2, s59
	v_add_co_u32_e32 v3, vcc, s58, v8
	v_addc_co_u32_e32 v4, vcc, v2, v9, vcc
	v_add_co_u32_e32 v2, vcc, v3, v10
	v_addc_co_u32_e32 v3, vcc, v4, v11, vcc
	s_mov_b32 s48, 0
.LBB0_114:                              ;   Parent Loop BB0_7 Depth=1
                                        ; =>  This Inner Loop Header: Depth=2
	global_load_dwordx2 v[4:5], v[2:3], off
	v_add_co_u32_e32 v2, vcc, 8, v2
	s_ashr_i32 s0, s48, 31
	v_addc_co_u32_e32 v3, vcc, 0, v3, vcc
	v_mov_b32_e32 v6, s0
	v_add_co_u32_e32 v22, vcc, s48, v24
	v_addc_co_u32_e32 v23, vcc, v25, v6, vcc
	v_mov_b32_e32 v21, v7
	v_mov_b32_e32 v17, v7
	;; [unrolled: 1-line block ×5, first 2 shown]
	s_add_i32 s48, s48, 2
	s_mov_b32 s24, s63
	s_mov_b64 s[46:47], s[34:35]
	s_waitcnt vmcnt(0)
	v_div_scale_f32 v6, s[0:1], s69, s69, v4
	v_div_scale_f32 v14, s[0:1], s70, s70, v5
	v_rcp_f32_e32 v18, v6
	v_rcp_f32_e32 v20, v14
	v_div_scale_f32 v12, vcc, v4, s69, v4
	v_fma_f32 v26, -v6, v18, 1.0
	v_fma_f32 v27, -v14, v20, 1.0
	v_fmac_f32_e32 v18, v26, v18
	v_div_scale_f32 v16, s[0:1], v5, s70, v5
	v_fmac_f32_e32 v20, v27, v20
	v_mul_f32_e32 v26, v12, v18
	v_mul_f32_e32 v27, v16, v20
	v_fma_f32 v28, -v6, v26, v12
	v_fma_f32 v29, -v14, v27, v16
	v_fmac_f32_e32 v26, v28, v18
	v_fmac_f32_e32 v27, v29, v20
	v_fma_f32 v6, -v6, v26, v12
	v_fma_f32 v12, -v14, v27, v16
	v_div_fmas_f32 v6, v6, v18, v26
	s_mov_b64 vcc, s[0:1]
	v_div_fixup_f32 v4, v6, s69, v4
	v_div_fmas_f32 v6, v12, v20, v27
	v_div_fixup_f32 v5, v6, s70, v5
	v_and_b32_e32 v6, 0x7f800000, v4
	v_and_b32_e32 v20, 0x7fffffff, v4
	v_bfe_u32 v14, v4, 23, 8
	v_and_b32_e32 v16, 0x7f800000, v5
	v_cmp_ne_u64_e64 s[2:3], s[40:41], v[6:7]
	v_and_b32_e32 v6, 0x7fffffff, v5
	v_cmp_gt_u64_e64 s[4:5], s[42:43], v[20:21]
	v_cmp_eq_u32_e32 vcc, 0, v4
	v_bfe_u32 v26, v5, 23, 8
	v_sub_u32_e32 v21, 0x78, v14
	v_cmp_gt_u32_e64 s[12:13], s77, v14
	v_cmp_ne_u64_e64 s[14:15], s[40:41], v[16:17]
	v_cmp_gt_u64_e64 s[16:17], s[42:43], v[6:7]
	s_and_b64 s[80:81], s[2:3], s[4:5]
	v_and_b32_e32 v12, 0x7fffff, v4
	v_and_b32_sdwa v30, v4, s78 dst_sel:DWORD dst_unused:UNUSED_PAD src0_sel:BYTE_3 src1_sel:DWORD
	v_cmp_ne_u32_e64 s[0:1], 0, v4
	v_or_b32_sdwa v4, v4, s76 dst_sel:DWORD dst_unused:UNUSED_PAD src0_sel:BYTE_3 src1_sel:DWORD
	v_add_u32_e32 v20, 0xffffff81, v14
	v_cmp_eq_u32_e64 s[10:11], 0, v14
	v_sub_u32_e32 v14, 0x78, v26
	v_cmp_gt_u32_e64 s[4:5], s77, v26
	v_cndmask_b32_e64 v16, 0, v21, s[12:13]
	s_and_b64 s[12:13], s[14:15], s[16:17]
	s_and_b64 s[14:15], s[80:81], vcc
	v_and_b32_e32 v18, 0x7fffff, v5
	v_cmp_eq_u32_e64 s[6:7], 0, v5
	v_or_b32_e32 v27, 0x800000, v12
	v_cmp_eq_u32_e64 s[2:3], 0, v26
	v_cndmask_b32_e64 v36, v4, 0, s[14:15]
	v_cndmask_b32_e64 v4, 0, v14, s[4:5]
	;; [unrolled: 1-line block ×3, first 2 shown]
	v_and_b32_sdwa v31, v5, s78 dst_sel:DWORD dst_unused:UNUSED_PAD src0_sel:BYTE_3 src1_sel:DWORD
	v_cmp_ne_u32_e64 s[8:9], 0, v5
	v_or_b32_sdwa v5, v5, s76 dst_sel:DWORD dst_unused:UNUSED_PAD src0_sel:BYTE_3 src1_sel:DWORD
	v_add_u32_e32 v6, 0xffffff81, v26
	v_or_b32_e32 v17, 0x800000, v18
	v_cndmask_b32_e64 v12, v27, v12, s[10:11]
	s_and_b64 vcc, s[80:81], s[0:1]
	s_and_b64 s[0:1], s[12:13], s[6:7]
	v_cndmask_b32_e64 v39, v4, v34, s[2:3]
	v_add_u32_e32 v16, 20, v37
	v_cndmask_b32_e64 v14, v6, v33, s[2:3]
	v_cndmask_b32_e64 v6, v17, v18, s[2:3]
	;; [unrolled: 1-line block ×3, first 2 shown]
	v_add_u32_e32 v18, 19, v37
	v_lshrrev_b64 v[4:5], v37, v[12:13]
	v_add_u32_e32 v13, 20, v39
	v_lshlrev_b64 v[16:17], v16, -1
	v_cndmask_b32_e64 v35, v20, v33, s[10:11]
	v_lshlrev_b64 v[20:21], v18, 1
	v_lshrrev_b64 v[26:27], v39, v[6:7]
	v_lshrrev_b32_e32 v18, 23, v4
	v_lshlrev_b64 v[28:29], v13, -1
	v_not_b32_e32 v13, v16
	v_add_u32_e32 v17, 19, v39
	v_bfe_u32 v40, v4, 20, 1
	v_lshrrev_b32_e32 v29, 23, v26
	v_add3_u32 v35, v37, v35, v18
	v_not_b32_e32 v28, v28
	v_and_b32_e32 v18, v12, v13
	v_lshlrev_b64 v[16:17], v17, 1
	v_bfe_u32 v37, v26, 20, 1
	v_add_u32_e32 v40, -1, v40
	v_add3_u32 v12, v39, v14, v29
	v_and_b32_e32 v14, v6, v28
	v_cmp_eq_u64_e64 s[2:3], v[18:19], v[20:21]
	v_add_u32_e32 v13, -1, v37
	v_cndmask_b32_e64 v18, 0, v40, s[2:3]
	v_cmp_eq_u64_e64 s[4:5], v[14:15], v[16:17]
	v_add_u32_e32 v6, 7, v12
	v_add_u32_e32 v19, 8, v12
	v_cndmask_b32_e64 v12, 0, v13, s[4:5]
	v_add_u32_e32 v13, v18, v4
	v_and_b32_e32 v13, 0xfffff, v13
	v_add_u32_e32 v12, v12, v26
	v_add_co_u32_e64 v4, s[6:7], v13, v4
	v_and_b32_e32 v12, 0xfffff, v12
	v_addc_co_u32_e64 v5, s[6:7], 0, v5, s[6:7]
	v_add_co_u32_e64 v12, s[6:7], v12, v26
	v_add_u32_e32 v29, 7, v35
	v_addc_co_u32_e64 v13, s[6:7], 0, v27, s[6:7]
	v_add_u32_e32 v35, 8, v35
	v_cmp_ne_u32_e64 s[2:3], 0, v29
	v_cmp_lt_u64_e64 s[6:7], s[44:45], v[4:5]
	v_cndmask_b32_e64 v14, v29, v35, s[6:7]
	v_bfe_u32 v15, v4, 23, 1
	s_and_b64 s[2:3], vcc, s[2:3]
	s_and_b64 s[0:1], s[12:13], s[8:9]
	v_cmp_ne_u32_e64 s[4:5], 0, v6
	v_cmp_lt_u64_e64 s[8:9], s[44:45], v[12:13]
	v_cndmask_b32_e64 v14, v15, v14, s[2:3]
	s_and_b64 s[2:3], s[2:3], s[6:7]
	v_cndmask_b32_e64 v6, v6, v19, s[8:9]
	v_bfe_u32 v16, v12, 23, 1
	v_cndmask_b32_e64 v15, 0, 1, s[2:3]
	s_and_b64 s[2:3], s[0:1], s[4:5]
	v_cndmask_b32_e64 v6, v16, v6, s[2:3]
	s_and_b64 s[2:3], s[2:3], s[8:9]
	v_cndmask_b32_e64 v16, 0, 1, s[2:3]
	v_lshrrev_b64 v[4:5], v15, v[4:5]
	v_lshrrev_b64 v[12:13], v16, v[12:13]
	;; [unrolled: 1-line block ×3, first 2 shown]
	v_cmp_gt_i32_e64 s[6:7], 16, v14
	v_min_i32_e32 v15, 15, v14
	v_lshrrev_b64 v[12:13], 20, v[12:13]
	v_cndmask_b32_e64 v5, 0, v5, s[6:7]
	v_cndmask_b32_e64 v4, 7, v4, s[6:7]
	v_cmp_gt_i32_e64 s[6:7], 16, v6
	v_cmp_eq_u32_e64 s[2:3], 0, v14
	v_min_i32_e32 v16, 15, v6
	v_lshl_or_b32 v15, v15, 3, v30
	v_cndmask_b32_e64 v13, 0, v13, s[6:7]
	v_cndmask_b32_e64 v12, 7, v12, s[6:7]
	v_cmp_eq_u64_e64 s[6:7], 0, v[4:5]
	v_cmp_eq_u32_e64 s[4:5], 0, v6
	v_lshl_or_b32 v14, v16, 3, v31
	v_and_or_b32 v4, v4, 7, v15
	v_cmp_eq_u64_e64 s[8:9], 0, v[12:13]
	s_and_b64 s[2:3], s[2:3], s[6:7]
	v_and_or_b32 v5, v12, 7, v14
	v_cndmask_b32_e64 v4, v4, 0, s[2:3]
	s_and_b64 s[2:3], s[4:5], s[8:9]
	v_cndmask_b32_e64 v5, v5, 0, s[2:3]
	v_cndmask_b32_e64 v5, v38, v5, s[0:1]
	v_cndmask_b32_e32 v4, v36, v4, vcc
	v_lshlrev_b16_e32 v5, 8, v5
	s_cmp_lg_u32 s63, s48
	v_or_b32_sdwa v4, v4, v5 dst_sel:DWORD dst_unused:UNUSED_PAD src0_sel:BYTE_0 src1_sel:DWORD
	global_store_short v[22:23], v4, off
	s_cbranch_scc1 .LBB0_114
; %bb.115:                              ;   in Loop: Header=BB0_7 Depth=1
	s_and_b64 vcc, exec, s[46:47]
	s_cbranch_vccz .LBB0_6
	s_branch .LBB0_117
.LBB0_116:                              ;   in Loop: Header=BB0_7 Depth=1
	s_mov_b32 s24, 0
	s_cbranch_execz .LBB0_6
.LBB0_117:                              ;   in Loop: Header=BB0_7 Depth=1
	s_sub_i32 s8, s21, s24
	s_lshl_b64 s[0:1], s[24:25], 2
	v_add_co_u32_e32 v2, vcc, v10, v8
	s_add_u32 s0, s58, s0
	v_addc_co_u32_e32 v3, vcc, v11, v9, vcc
	s_addc_u32 s1, s59, s1
	v_mov_b32_e32 v4, s1
	v_add_co_u32_e32 v2, vcc, s0, v2
	s_mul_i32 s9, s20, s24
	v_addc_co_u32_e32 v3, vcc, v4, v3, vcc
	s_branch .LBB0_122
.LBB0_118:                              ;   in Loop: Header=BB0_122 Depth=2
	s_or_b64 exec, exec, s[0:1]
	v_lshrrev_b64 v[4:5], 20, v[4:5]
	v_cmp_gt_i32_e32 vcc, 16, v6
	v_and_b32_sdwa v8, v8, s78 dst_sel:DWORD dst_unused:UNUSED_PAD src0_sel:BYTE_3 src1_sel:DWORD
	v_min_i32_e32 v9, 15, v6
	v_cndmask_b32_e32 v5, 0, v5, vcc
	v_cndmask_b32_e32 v4, 7, v4, vcc
	v_cmp_eq_u32_e32 vcc, 0, v6
	v_cmp_eq_u64_e64 s[0:1], 0, v[4:5]
	v_lshl_or_b32 v5, v9, 3, v8
	v_and_or_b32 v4, v4, 7, v5
	s_and_b64 s[0:1], vcc, s[0:1]
	v_cndmask_b32_e64 v4, v4, 0, s[0:1]
.LBB0_119:                              ;   in Loop: Header=BB0_122 Depth=2
	s_or_b64 exec, exec, s[6:7]
.LBB0_120:                              ;   in Loop: Header=BB0_122 Depth=2
	s_andn2_saveexec_b64 s[0:1], s[4:5]
	s_or_b64 exec, exec, s[0:1]
.LBB0_121:                              ;   in Loop: Header=BB0_122 Depth=2
	s_andn2_saveexec_b64 s[0:1], s[2:3]
	s_or_b64 exec, exec, s[0:1]
	s_ashr_i32 s0, s9, 31
	v_mov_b32_e32 v5, s0
	v_add_co_u32_e32 v8, vcc, s9, v24
	v_addc_co_u32_e32 v9, vcc, v25, v5, vcc
	s_add_i32 s8, s8, -1
	s_add_i32 s9, s9, s20
	v_add_co_u32_e32 v2, vcc, 4, v2
	s_cmp_eq_u32 s8, 0
	v_addc_co_u32_e32 v3, vcc, 0, v3, vcc
	global_store_byte v[8:9], v4, off
	s_cbranch_scc1 .LBB0_6
.LBB0_122:                              ;   Parent Loop BB0_7 Depth=1
                                        ; =>  This Inner Loop Header: Depth=2
	global_load_dword v4, v[2:3], off
	s_waitcnt vmcnt(0)
	v_div_scale_f32 v5, s[0:1], s23, s23, v4
	v_rcp_f32_e32 v6, v5
	v_div_scale_f32 v8, vcc, v4, s23, v4
	v_fma_f32 v9, -v5, v6, 1.0
	v_fmac_f32_e32 v6, v9, v6
	v_mul_f32_e32 v9, v8, v6
	v_fma_f32 v10, -v5, v9, v8
	v_fmac_f32_e32 v9, v10, v6
	v_fma_f32 v5, -v5, v9, v8
	v_div_fmas_f32 v5, v5, v6, v9
	v_div_fixup_f32 v8, v5, s23, v4
	v_and_b32_e32 v6, 0x7f800000, v8
	v_or_b32_sdwa v4, v8, s76 dst_sel:DWORD dst_unused:UNUSED_PAD src0_sel:BYTE_3 src1_sel:DWORD
	v_cmp_ne_u64_e32 vcc, s[40:41], v[6:7]
	s_and_saveexec_b64 s[0:1], vcc
	s_xor_b64 s[2:3], exec, s[0:1]
	s_cbranch_execz .LBB0_121
; %bb.123:                              ;   in Loop: Header=BB0_122 Depth=2
	v_and_b32_e32 v6, 0x7fffffff, v8
	v_cmp_gt_u64_e32 vcc, s[42:43], v[6:7]
	s_and_saveexec_b64 s[0:1], vcc
	s_xor_b64 s[4:5], exec, s[0:1]
	s_cbranch_execz .LBB0_120
; %bb.124:                              ;   in Loop: Header=BB0_122 Depth=2
	v_cmp_ne_u32_e32 vcc, 0, v8
	v_mov_b32_e32 v4, 0
	s_and_saveexec_b64 s[6:7], vcc
	s_cbranch_execz .LBB0_119
; %bb.125:                              ;   in Loop: Header=BB0_122 Depth=2
	v_bfe_u32 v5, v8, 23, 8
	v_sub_u32_e32 v9, 0x78, v5
	v_cmp_gt_u32_e32 vcc, s77, v5
	v_and_b32_e32 v4, 0x7fffff, v8
	v_cndmask_b32_e32 v9, 0, v9, vcc
	v_cmp_eq_u32_e32 vcc, 0, v5
	v_add_u32_e32 v6, 0xffffff81, v5
	v_or_b32_e32 v10, 0x800000, v4
	v_cndmask_b32_e32 v9, v9, v34, vcc
	v_cndmask_b32_e32 v11, v6, v33, vcc
	;; [unrolled: 1-line block ×3, first 2 shown]
	v_add_u32_e32 v4, 20, v9
	v_lshlrev_b64 v[4:5], v4, -1
	v_not_b32_e32 v4, v4
	v_lshrrev_b64 v[14:15], v9, v[6:7]
	v_and_b32_e32 v4, v6, v4
	v_add_u32_e32 v10, 19, v9
	v_lshrrev_b32_e32 v6, 23, v14
	v_mov_b32_e32 v5, v7
	v_lshlrev_b64 v[12:13], v10, 1
	v_add3_u32 v10, v9, v11, v6
	v_bfe_u32 v6, v14, 20, 1
	v_add_u32_e32 v6, -1, v6
	v_cmp_eq_u64_e32 vcc, v[4:5], v[12:13]
	v_cndmask_b32_e32 v4, 0, v6, vcc
	v_add_u32_e32 v4, v4, v14
	v_and_b32_e32 v4, 0xfffff, v4
	v_add_co_u32_e32 v4, vcc, v4, v14
	v_add_u32_e32 v9, 7, v10
	v_addc_co_u32_e32 v5, vcc, 0, v15, vcc
	v_cmp_ne_u32_e32 vcc, 0, v9
                                        ; implicit-def: $vgpr6
	s_and_saveexec_b64 s[0:1], vcc
	s_xor_b64 s[0:1], exec, s[0:1]
; %bb.126:                              ;   in Loop: Header=BB0_122 Depth=2
	v_add_u32_e32 v6, 8, v10
	v_cmp_lt_u64_e32 vcc, s[44:45], v[4:5]
	v_cndmask_b32_e32 v6, v9, v6, vcc
	v_cndmask_b32_e64 v9, 0, 1, vcc
	v_lshrrev_b64 v[4:5], v9, v[4:5]
; %bb.127:                              ;   in Loop: Header=BB0_122 Depth=2
	s_andn2_saveexec_b64 s[0:1], s[0:1]
	s_cbranch_execz .LBB0_118
; %bb.128:                              ;   in Loop: Header=BB0_122 Depth=2
	v_bfe_u32 v6, v4, 23, 1
	s_branch .LBB0_118
.LBB0_129:
	s_endpgm
.LBB0_130:
                                        ; implicit-def: $sgpr0_sgpr1
	s_branch .LBB0_3
	.section	.rodata,"a",@progbits
	.p2align	6, 0x0
	.amdhsa_kernel _Z24reshape_and_cache_kernelIfhL18Fp8KVCacheDataType1EEvPKT_S3_PT0_S5_PKliiiiiiff
		.amdhsa_group_segment_fixed_size 0
		.amdhsa_private_segment_fixed_size 0
		.amdhsa_kernarg_size 328
		.amdhsa_user_sgpr_count 6
		.amdhsa_user_sgpr_private_segment_buffer 1
		.amdhsa_user_sgpr_dispatch_ptr 0
		.amdhsa_user_sgpr_queue_ptr 0
		.amdhsa_user_sgpr_kernarg_segment_ptr 1
		.amdhsa_user_sgpr_dispatch_id 0
		.amdhsa_user_sgpr_flat_scratch_init 0
		.amdhsa_user_sgpr_kernarg_preload_length 0
		.amdhsa_user_sgpr_kernarg_preload_offset 0
		.amdhsa_user_sgpr_private_segment_size 0
		.amdhsa_uses_dynamic_stack 0
		.amdhsa_system_sgpr_private_segment_wavefront_offset 0
		.amdhsa_system_sgpr_workgroup_id_x 1
		.amdhsa_system_sgpr_workgroup_id_y 0
		.amdhsa_system_sgpr_workgroup_id_z 0
		.amdhsa_system_sgpr_workgroup_info 0
		.amdhsa_system_vgpr_workitem_id 0
		.amdhsa_next_free_vgpr 57
		.amdhsa_next_free_sgpr 82
		.amdhsa_accum_offset 60
		.amdhsa_reserve_vcc 1
		.amdhsa_reserve_flat_scratch 0
		.amdhsa_float_round_mode_32 0
		.amdhsa_float_round_mode_16_64 0
		.amdhsa_float_denorm_mode_32 3
		.amdhsa_float_denorm_mode_16_64 3
		.amdhsa_dx10_clamp 1
		.amdhsa_ieee_mode 1
		.amdhsa_fp16_overflow 0
		.amdhsa_tg_split 0
		.amdhsa_exception_fp_ieee_invalid_op 0
		.amdhsa_exception_fp_denorm_src 0
		.amdhsa_exception_fp_ieee_div_zero 0
		.amdhsa_exception_fp_ieee_overflow 0
		.amdhsa_exception_fp_ieee_underflow 0
		.amdhsa_exception_fp_ieee_inexact 0
		.amdhsa_exception_int_div_zero 0
	.end_amdhsa_kernel
	.section	.text._Z24reshape_and_cache_kernelIfhL18Fp8KVCacheDataType1EEvPKT_S3_PT0_S5_PKliiiiiiff,"axG",@progbits,_Z24reshape_and_cache_kernelIfhL18Fp8KVCacheDataType1EEvPKT_S3_PT0_S5_PKliiiiiiff,comdat
.Lfunc_end0:
	.size	_Z24reshape_and_cache_kernelIfhL18Fp8KVCacheDataType1EEvPKT_S3_PT0_S5_PKliiiiiiff, .Lfunc_end0-_Z24reshape_and_cache_kernelIfhL18Fp8KVCacheDataType1EEvPKT_S3_PT0_S5_PKliiiiiiff
                                        ; -- End function
	.section	.AMDGPU.csdata,"",@progbits
; Kernel info:
; codeLenInByte = 9724
; NumSgprs: 86
; NumVgprs: 57
; NumAgprs: 0
; TotalNumVgprs: 57
; ScratchSize: 0
; MemoryBound: 0
; FloatMode: 240
; IeeeMode: 1
; LDSByteSize: 0 bytes/workgroup (compile time only)
; SGPRBlocks: 10
; VGPRBlocks: 7
; NumSGPRsForWavesPerEU: 86
; NumVGPRsForWavesPerEU: 57
; AccumOffset: 60
; Occupancy: 8
; WaveLimiterHint : 0
; COMPUTE_PGM_RSRC2:SCRATCH_EN: 0
; COMPUTE_PGM_RSRC2:USER_SGPR: 6
; COMPUTE_PGM_RSRC2:TRAP_HANDLER: 0
; COMPUTE_PGM_RSRC2:TGID_X_EN: 1
; COMPUTE_PGM_RSRC2:TGID_Y_EN: 0
; COMPUTE_PGM_RSRC2:TGID_Z_EN: 0
; COMPUTE_PGM_RSRC2:TIDIG_COMP_CNT: 0
; COMPUTE_PGM_RSRC3_GFX90A:ACCUM_OFFSET: 14
; COMPUTE_PGM_RSRC3_GFX90A:TG_SPLIT: 0
	.section	.text._Z24reshape_and_cache_kernelI14__hip_bfloat16hL18Fp8KVCacheDataType1EEvPKT_S4_PT0_S6_PKliiiiiiff,"axG",@progbits,_Z24reshape_and_cache_kernelI14__hip_bfloat16hL18Fp8KVCacheDataType1EEvPKT_S4_PT0_S6_PKliiiiiiff,comdat
	.protected	_Z24reshape_and_cache_kernelI14__hip_bfloat16hL18Fp8KVCacheDataType1EEvPKT_S4_PT0_S6_PKliiiiiiff ; -- Begin function _Z24reshape_and_cache_kernelI14__hip_bfloat16hL18Fp8KVCacheDataType1EEvPKT_S4_PT0_S6_PKliiiiiiff
	.globl	_Z24reshape_and_cache_kernelI14__hip_bfloat16hL18Fp8KVCacheDataType1EEvPKT_S4_PT0_S6_PKliiiiiiff
	.p2align	8
	.type	_Z24reshape_and_cache_kernelI14__hip_bfloat16hL18Fp8KVCacheDataType1EEvPKT_S4_PT0_S6_PKliiiiiiff,@function
_Z24reshape_and_cache_kernelI14__hip_bfloat16hL18Fp8KVCacheDataType1EEvPKT_S4_PT0_S6_PKliiiiiiff: ; @_Z24reshape_and_cache_kernelI14__hip_bfloat16hL18Fp8KVCacheDataType1EEvPKT_S4_PT0_S6_PKliiiiiiff
; %bb.0:
	s_load_dwordx2 s[0:1], s[4:5], 0x20
	s_mov_b32 s7, 0
	s_lshl_b64 s[2:3], s[6:7], 3
	s_waitcnt lgkmcnt(0)
	s_add_u32 s0, s0, s2
	s_addc_u32 s1, s1, s3
	s_load_dwordx2 s[2:3], s[0:1], 0x0
	s_waitcnt lgkmcnt(0)
	v_cmp_lt_i64_e64 s[0:1], s[2:3], 0
	s_and_b64 vcc, exec, s[0:1]
	s_cbranch_vccnz .LBB1_225
; %bb.1:
	s_load_dwordx8 s[36:43], s[4:5], 0x28
	s_waitcnt lgkmcnt(0)
	s_ashr_i32 s17, s40, 31
	s_mov_b32 s16, s40
	s_or_b64 s[0:1], s[2:3], s[16:17]
	s_mov_b32 s0, s7
	s_cmp_lg_u64 s[0:1], 0
	s_cbranch_scc0 .LBB1_226
; %bb.2:
	s_add_u32 s0, s16, s17
	s_mov_b32 s10, s17
	s_mov_b32 s11, s17
	s_addc_u32 s1, s17, s17
	s_xor_b64 s[12:13], s[0:1], s[10:11]
	v_cvt_f32_u32_e32 v1, s12
	v_cvt_f32_u32_e32 v2, s13
	s_sub_u32 s0, 0, s12
	s_subb_u32 s1, 0, s13
	v_madmk_f32 v1, v2, 0x4f800000, v1
	v_rcp_f32_e32 v1, v1
	v_mul_f32_e32 v1, 0x5f7ffffc, v1
	v_mul_f32_e32 v2, 0x2f800000, v1
	v_trunc_f32_e32 v2, v2
	v_madmk_f32 v1, v2, 0xcf800000, v1
	v_cvt_u32_f32_e32 v2, v2
	v_cvt_u32_f32_e32 v1, v1
	v_readfirstlane_b32 s7, v2
	v_readfirstlane_b32 s14, v1
	s_mul_i32 s15, s0, s7
	s_mul_hi_u32 s19, s0, s14
	s_mul_i32 s18, s1, s14
	s_add_i32 s15, s19, s15
	s_add_i32 s15, s15, s18
	s_mul_i32 s20, s0, s14
	s_mul_hi_u32 s18, s14, s15
	s_mul_i32 s19, s14, s15
	s_mul_hi_u32 s14, s14, s20
	s_add_u32 s14, s14, s19
	s_addc_u32 s18, 0, s18
	s_mul_hi_u32 s21, s7, s20
	s_mul_i32 s20, s7, s20
	s_add_u32 s14, s14, s20
	s_mul_hi_u32 s19, s7, s15
	s_addc_u32 s14, s18, s21
	s_addc_u32 s18, s19, 0
	s_mul_i32 s15, s7, s15
	s_add_u32 s14, s14, s15
	s_addc_u32 s15, 0, s18
	v_add_co_u32_e32 v1, vcc, s14, v1
	s_cmp_lg_u64 vcc, 0
	s_addc_u32 s7, s7, s15
	v_readfirstlane_b32 s15, v1
	s_mul_i32 s14, s0, s7
	s_mul_hi_u32 s18, s0, s15
	s_add_i32 s14, s18, s14
	s_mul_i32 s1, s1, s15
	s_add_i32 s14, s14, s1
	s_mul_i32 s0, s0, s15
	s_mul_hi_u32 s18, s7, s0
	s_mul_i32 s19, s7, s0
	s_mul_i32 s21, s15, s14
	s_mul_hi_u32 s0, s15, s0
	s_mul_hi_u32 s20, s15, s14
	s_add_u32 s0, s0, s21
	s_addc_u32 s15, 0, s20
	s_add_u32 s0, s0, s19
	s_mul_hi_u32 s1, s7, s14
	s_addc_u32 s0, s15, s18
	s_addc_u32 s1, s1, 0
	s_mul_i32 s14, s7, s14
	s_add_u32 s0, s0, s14
	s_addc_u32 s1, 0, s1
	v_add_co_u32_e32 v1, vcc, s0, v1
	s_cmp_lg_u64 vcc, 0
	s_addc_u32 s7, s7, s1
	s_ashr_i32 s14, s3, 31
	s_add_u32 s0, s2, s14
	s_mov_b32 s15, s14
	s_addc_u32 s1, s3, s14
	s_xor_b64 s[18:19], s[0:1], s[14:15]
	v_readfirstlane_b32 s20, v1
	s_mul_i32 s1, s18, s7
	s_mul_hi_u32 s21, s18, s20
	s_mul_hi_u32 s0, s18, s7
	s_add_u32 s1, s21, s1
	s_addc_u32 s0, 0, s0
	s_mul_hi_u32 s22, s19, s20
	s_mul_i32 s20, s19, s20
	s_add_u32 s1, s1, s20
	s_mul_hi_u32 s21, s19, s7
	s_addc_u32 s0, s0, s22
	s_addc_u32 s1, s21, 0
	s_mul_i32 s7, s19, s7
	s_add_u32 s7, s0, s7
	s_addc_u32 s20, 0, s1
	s_mul_i32 s0, s12, s20
	s_mul_hi_u32 s1, s12, s7
	s_add_i32 s0, s1, s0
	s_mul_i32 s1, s13, s7
	s_add_i32 s21, s0, s1
	s_mul_i32 s1, s12, s7
	v_mov_b32_e32 v1, s1
	s_sub_i32 s0, s19, s21
	v_sub_co_u32_e32 v1, vcc, s18, v1
	s_cmp_lg_u64 vcc, 0
	s_subb_u32 s18, s0, s13
	v_subrev_co_u32_e64 v2, s[0:1], s12, v1
	s_cmp_lg_u64 s[0:1], 0
	s_subb_u32 s0, s18, 0
	s_cmp_ge_u32 s0, s13
	v_readfirstlane_b32 s18, v2
	s_cselect_b32 s1, -1, 0
	s_cmp_ge_u32 s18, s12
	s_cselect_b32 s18, -1, 0
	s_cmp_eq_u32 s0, s13
	s_cselect_b32 s0, s18, s1
	s_add_u32 s1, s7, 1
	s_addc_u32 s18, s20, 0
	s_add_u32 s22, s7, 2
	s_addc_u32 s23, s20, 0
	s_cmp_lg_u32 s0, 0
	s_cselect_b32 s0, s22, s1
	s_cselect_b32 s1, s23, s18
	s_cmp_lg_u64 vcc, 0
	s_subb_u32 s18, s19, s21
	s_cmp_ge_u32 s18, s13
	v_readfirstlane_b32 s21, v1
	s_cselect_b32 s19, -1, 0
	s_cmp_ge_u32 s21, s12
	s_cselect_b32 s12, -1, 0
	s_cmp_eq_u32 s18, s13
	s_cselect_b32 s12, s12, s19
	s_cmp_lg_u32 s12, 0
	s_cselect_b32 s1, s1, s20
	s_cselect_b32 s0, s0, s7
	s_xor_b64 s[10:11], s[14:15], s[10:11]
	s_xor_b64 s[0:1], s[0:1], s[10:11]
	s_sub_u32 s0, s0, s10
	s_subb_u32 s1, s1, s11
	s_cbranch_execnz .LBB1_4
.LBB1_3:
	v_cvt_f32_u32_e32 v1, s16
	s_sub_i32 s0, 0, s16
	s_mov_b32 s1, 0
	v_rcp_iflag_f32_e32 v1, v1
	v_mul_f32_e32 v1, 0x4f7ffffe, v1
	v_cvt_u32_f32_e32 v1, v1
	v_readfirstlane_b32 s7, v1
	s_mul_i32 s0, s0, s7
	s_mul_hi_u32 s0, s7, s0
	s_add_i32 s7, s7, s0
	s_mul_hi_u32 s0, s2, s7
	s_mul_i32 s8, s0, s16
	s_sub_i32 s8, s2, s8
	s_add_i32 s7, s0, 1
	s_sub_i32 s9, s8, s16
	s_cmp_ge_u32 s8, s16
	s_cselect_b32 s0, s7, s0
	s_cselect_b32 s8, s9, s8
	s_add_i32 s7, s0, 1
	s_cmp_ge_u32 s8, s16
	s_cselect_b32 s0, s7, s0
.LBB1_4:
	s_abs_i32 s7, s41
	v_cvt_f32_u32_e32 v1, s7
	s_sub_i32 s10, 0, s7
	s_abs_i32 s9, s39
	s_xor_b32 s8, s39, s41
	v_rcp_iflag_f32_e32 v1, v1
	s_ashr_i32 s8, s8, 31
                                        ; implicit-def: $vgpr72 : SGPR spill to VGPR lane
	v_mul_f32_e32 v1, 0x4f7ffffe, v1
	v_cvt_u32_f32_e32 v1, v1
	v_readfirstlane_b32 s11, v1
	s_mul_i32 s10, s10, s11
	s_mul_hi_u32 s10, s11, s10
	s_add_i32 s11, s11, s10
	s_mul_hi_u32 s10, s9, s11
	s_mul_i32 s11, s10, s7
	s_sub_i32 s9, s9, s11
	s_add_i32 s12, s10, 1
	s_sub_i32 s11, s9, s7
	s_cmp_ge_u32 s9, s7
	s_cselect_b32 s10, s12, s10
	s_cselect_b32 s9, s11, s9
	s_add_i32 s11, s10, 1
	s_cmp_ge_u32 s9, s7
	s_cselect_b32 s7, s11, s10
	s_xor_b32 s7, s7, s8
	s_sub_i32 s7, s7, s8
	s_mul_i32 s77, s7, s38
	v_cmp_gt_i32_e32 vcc, s77, v0
	v_writelane_b32 v72, s7, 0
	s_and_saveexec_b64 s[8:9], vcc
	s_cbranch_execz .LBB1_225
; %bb.5:
	s_mul_i32 s7, s0, s17
	s_mul_hi_u32 s17, s0, s16
	s_add_i32 s7, s17, s7
	s_mul_i32 s17, s1, s16
	s_add_i32 s17, s7, s17
	s_mul_i32 s20, s0, s16
	s_load_dwordx8 s[8:15], s[4:5], 0x0
	s_sub_u32 s63, s2, s20
	s_subb_u32 s73, s3, s17
	s_ashr_i32 s7, s36, 31
	s_mul_hi_u32 s18, s36, s6
	s_mul_i32 s7, s7, s6
	s_add_i32 s19, s18, s7
	s_mul_i32 s18, s36, s6
	s_lshl_b64 s[18:19], s[18:19], 1
	s_waitcnt lgkmcnt(0)
	s_add_u32 s33, s8, s18
	s_addc_u32 s21, s9, s19
	s_ashr_i32 s7, s37, 31
	s_mul_hi_u32 s8, s37, s6
	s_mul_i32 s7, s7, s6
	s_add_i32 s7, s8, s7
	s_mul_i32 s1, s77, s1
	s_mul_hi_u32 s8, s77, s0
	v_readlane_b32 s22, v72, 0
	s_add_i32 s1, s8, s1
	s_mul_hi_i32 s8, s38, s22
	s_mul_i32 s9, s8, s0
	s_add_i32 s1, s1, s9
	s_mul_i32 s0, s77, s0
	s_mul_hi_i32 s18, s41, s16
	s_mul_i32 s16, s41, s16
	s_mul_hi_u32 s19, s16, s0
	s_mul_i32 s1, s16, s1
	s_add_i32 s1, s19, s1
	s_mul_i32 s18, s18, s0
	s_ashr_i32 s9, s41, 31
	s_add_i32 s18, s1, s18
	s_mul_i32 s16, s16, s0
	s_add_u32 s0, s12, s16
	v_writelane_b32 v72, s0, 1
	s_addc_u32 s0, s13, s18
	v_writelane_b32 v72, s0, 2
	s_mul_i32 s0, s63, s9
	s_mul_hi_u32 s1, s63, s41
	s_add_i32 s0, s1, s0
	s_mul_i32 s1, s73, s41
	s_add_i32 s0, s0, s1
	v_writelane_b32 v72, s0, 3
	s_mul_i32 s0, s63, s41
	v_writelane_b32 v72, s0, 4
	s_and_b32 s0, s41, 7
	s_cmp_eq_u32 s0, 0
	s_cselect_b64 s[0:1], -1, 0
	s_ashr_i32 s30, s41, 3
	s_mul_i32 s6, s37, s6
	s_cmp_gt_i32 s30, 0
	s_cselect_b64 s[64:65], -1, 0
	s_lshl_b64 s[6:7], s[6:7], 1
	s_add_u32 s83, s10, s6
	s_load_dword s4, s[4:5], 0x54
	s_addc_u32 s72, s11, s7
	s_add_u32 s82, s14, s16
	s_addc_u32 s79, s15, s18
	s_cmp_gt_i32 s41, 0
	s_cselect_b64 s[34:35], -1, 0
	s_waitcnt lgkmcnt(0)
	s_and_b32 s70, s4, 0xffff
	s_cmp_gt_u32 s41, 3
	s_cselect_b64 s[4:5], -1, 0
	s_cmp_eq_u32 s40, 1
	s_cselect_b64 s[6:7], -1, 0
	s_and_b64 s[68:69], s[4:5], s[6:7]
	s_and_b32 s88, s41, 0x7ffffffc
	s_cmp_lg_u32 s88, s41
	s_cselect_b64 s[44:45], -1, 0
	s_abs_i32 s89, s22
	v_cvt_f32_u32_e32 v1, s89
	s_ashr_i32 s75, s22, 31
	s_sub_i32 s4, 0, s89
	s_mul_i32 s86, s41, s40
	v_rcp_iflag_f32_e32 v1, v1
	s_mov_b32 s87, s42
	s_mov_b32 s90, s42
	;; [unrolled: 1-line block ×3, first 2 shown]
	v_mul_f32_e32 v1, 0x4f7ffffe, v1
	v_cvt_u32_f32_e32 v1, v1
	s_mov_b32 s92, s42
	s_mov_b32 s93, s43
	;; [unrolled: 1-line block ×3, first 2 shown]
	v_mul_lo_u32 v2, s4, v1
	s_add_u32 s4, s77, -1
	s_addc_u32 s5, s8, -1
	s_mul_i32 s5, s20, s5
	s_mul_hi_u32 s7, s20, s4
	s_mul_i32 s6, s17, s4
	s_add_i32 s5, s7, s5
	s_add_i32 s5, s5, s6
	s_mul_i32 s4, s20, s4
	s_add_u32 s4, s2, s4
	s_addc_u32 s5, s3, s5
	s_mul_i32 s6, s4, s9
	s_mul_hi_u32 s7, s4, s41
	s_add_i32 s6, s7, s6
	s_mul_i32 s5, s5, s41
	s_add_i32 s6, s6, s5
	s_mul_i32 s4, s4, s41
	s_add_u32 s78, s12, s4
	s_addc_u32 s4, s13, s6
	v_writelane_b32 v72, s4, 5
	s_mul_i32 s4, s77, s9
	s_mul_hi_u32 s5, s77, s41
	s_add_i32 s4, s5, s4
	s_mul_i32 s8, s8, s41
	s_add_i32 s4, s4, s8
	s_mul_i32 s5, s77, s41
	s_add_u32 s5, s5, -1
	s_addc_u32 s4, s4, -1
	s_mul_i32 s4, s20, s4
	s_mul_hi_u32 s6, s20, s5
	s_mul_i32 s17, s17, s5
	s_add_i32 s4, s6, s4
	s_add_i32 s4, s4, s17
	s_mul_i32 s20, s20, s5
	s_add_u32 s2, s2, s20
	s_addc_u32 s3, s3, s4
	s_add_u32 s2, s14, s2
	v_writelane_b32 v72, s2, 6
	s_addc_u32 s2, s15, s3
	v_writelane_b32 v72, s2, 7
	v_mul_hi_u32 v2, v1, v2
	v_writelane_b32 v72, s21, 8
	s_xor_b64 s[0:1], s[0:1], -1
	s_mov_b32 s95, s43
	s_mov_b32 s80, s43
	v_add_u32_e32 v1, v1, v2
	v_mov_b32_e32 v7, 0
	s_mov_b64 s[46:47], 0
	v_mov_b32_e32 v42, s21
	v_writelane_b32 v72, s0, 9
	s_movk_i32 s85, 0x7f
	s_mov_b64 s[50:51], 0x7f800000
	s_mov_b64 s[52:53], 0x43700001
	s_movk_i32 s76, 0x79
	s_mov_b64 s[54:55], 0xffffff
	s_movk_i32 s84, 0x80
	s_mov_b32 s74, 0xff00
	s_mov_b32 s81, 0x4020c0c
	v_mov_b32_e32 v43, 0xffffff82
	v_mov_b32_e32 v44, 0x77
	v_writelane_b32 v72, s1, 10
	s_branch .LBB1_7
.LBB1_6:                                ;   in Loop: Header=BB1_7 Depth=1
	v_add_u32_e32 v0, s70, v0
	v_cmp_le_i32_e32 vcc, s77, v0
	s_or_b64 s[46:47], vcc, s[46:47]
	s_andn2_b64 exec, exec, s[46:47]
	s_cbranch_execz .LBB1_225
.LBB1_7:                                ; =>This Loop Header: Depth=1
                                        ;     Child Loop BB1_14 Depth 2
                                        ;     Child Loop BB1_27 Depth 2
	;; [unrolled: 1-line block ×7, first 2 shown]
	v_sub_u32_e32 v3, 0, v0
	v_max_i32_e32 v3, v0, v3
	v_mul_hi_u32 v4, v3, v1
	v_mul_lo_u32 v5, v4, s89
	v_sub_u32_e32 v3, v3, v5
	v_add_u32_e32 v5, 1, v4
	v_cmp_le_u32_e32 vcc, s89, v3
	v_cndmask_b32_e32 v4, v4, v5, vcc
	v_subrev_u32_e32 v5, s89, v3
	v_cndmask_b32_e32 v3, v3, v5, vcc
	v_ashrrev_i32_e32 v2, 31, v0
	v_add_u32_e32 v5, 1, v4
	v_cmp_le_u32_e32 vcc, s89, v3
	v_xor_b32_e32 v2, s75, v2
	v_cndmask_b32_e32 v3, v4, v5, vcc
	v_xor_b32_e32 v3, v3, v2
	v_sub_u32_e32 v2, v3, v2
	v_readlane_b32 s0, v72, 0
	v_mul_lo_u32 v4, v2, s0
	v_mul_lo_u32 v2, v2, s39
	v_sub_u32_e32 v5, v0, v4
	v_ashrrev_i32_e32 v3, 31, v2
	v_lshlrev_b64 v[8:9], 1, v[2:3]
	v_mul_lo_u32 v12, v5, s41
	v_add_co_u32_e32 v2, vcc, s33, v8
	v_ashrrev_i32_e32 v13, 31, v12
	v_addc_co_u32_e32 v3, vcc, v42, v9, vcc
	v_lshlrev_b64 v[10:11], 1, v[12:13]
	v_add_co_u32_e32 v18, vcc, v2, v10
	v_addc_co_u32_e32 v19, vcc, v3, v11, vcc
	v_and_b32_e32 v6, 15, v18
	v_readlane_b32 s0, v72, 9
	v_mul_lo_u32 v13, v4, s86
	v_mul_lo_u32 v36, s86, v5
	v_cmp_ne_u64_e32 vcc, 0, v[6:7]
	v_readlane_b32 s1, v72, 10
	v_ashrrev_i32_e32 v45, 31, v13
	v_ashrrev_i32_e32 v37, 31, v36
	s_or_b64 s[0:1], s[0:1], vcc
	s_and_saveexec_b64 s[2:3], s[0:1]
	s_xor_b64 s[56:57], exec, s[2:3]
	s_cbranch_execz .LBB1_123
; %bb.8:                                ;   in Loop: Header=BB1_7 Depth=1
	v_sub_u32_e32 v2, 0, v18
	v_bfe_u32 v2, v2, 1, 3
	v_min_i32_e32 v14, s41, v2
	v_cmp_lt_i32_e32 vcc, 0, v14
	s_and_saveexec_b64 s[2:3], vcc
	s_cbranch_execz .LBB1_21
; %bb.9:                                ;   in Loop: Header=BB1_7 Depth=1
	v_add_co_u32_e32 v2, vcc, v13, v36
	v_addc_co_u32_e32 v3, vcc, v45, v37, vcc
	v_readlane_b32 s0, v72, 5
	v_mov_b32_e32 v4, s0
	v_add_co_u32_e32 v2, vcc, s78, v2
	v_addc_co_u32_e32 v3, vcc, v4, v3, vcc
	s_mov_b64 s[4:5], 0
	v_pk_mov_b32 v[4:5], v[18:19], v[18:19] op_sel:[0,1]
	v_mov_b32_e32 v15, v14
	s_branch .LBB1_14
.LBB1_10:                               ;   in Loop: Header=BB1_14 Depth=2
	s_or_b64 exec, exec, s[0:1]
	v_lshrrev_b64 v[16:17], 20, v[16:17]
	v_cmp_gt_i32_e32 vcc, 16, v6
	v_and_b32_sdwa v20, v20, s84 dst_sel:DWORD dst_unused:UNUSED_PAD src0_sel:BYTE_3 src1_sel:DWORD
	v_min_i32_e32 v21, 15, v6
	v_cndmask_b32_e32 v17, 0, v17, vcc
	v_cndmask_b32_e32 v16, 7, v16, vcc
	v_cmp_eq_u32_e32 vcc, 0, v6
	v_cmp_eq_u64_e64 s[0:1], 0, v[16:17]
	v_lshl_or_b32 v6, v21, 3, v20
	v_and_or_b32 v6, v16, 7, v6
	s_and_b64 s[0:1], vcc, s[0:1]
	v_cndmask_b32_e64 v16, v6, 0, s[0:1]
.LBB1_11:                               ;   in Loop: Header=BB1_14 Depth=2
	s_or_b64 exec, exec, s[10:11]
.LBB1_12:                               ;   in Loop: Header=BB1_14 Depth=2
	s_andn2_saveexec_b64 s[0:1], s[8:9]
	s_or_b64 exec, exec, s[0:1]
.LBB1_13:                               ;   in Loop: Header=BB1_14 Depth=2
	s_andn2_saveexec_b64 s[0:1], s[6:7]
	s_or_b64 exec, exec, s[0:1]
	v_add_co_u32_e32 v4, vcc, 2, v4
	v_add_u32_e32 v15, -1, v15
	v_addc_co_u32_e32 v5, vcc, 0, v5, vcc
	v_cmp_eq_u32_e32 vcc, 0, v15
	global_store_byte v[2:3], v16, off
	s_or_b64 s[4:5], vcc, s[4:5]
	v_add_co_u32_e32 v2, vcc, 1, v2
	v_addc_co_u32_e32 v3, vcc, 0, v3, vcc
	s_andn2_b64 exec, exec, s[4:5]
	s_cbranch_execz .LBB1_21
.LBB1_14:                               ;   Parent Loop BB1_7 Depth=1
                                        ; =>  This Inner Loop Header: Depth=2
	global_load_ushort v6, v[4:5], off
	s_waitcnt vmcnt(0)
	v_lshlrev_b32_e32 v6, 16, v6
	v_div_scale_f32 v16, s[0:1], s42, s42, v6
	v_rcp_f32_e32 v17, v16
	v_div_scale_f32 v20, vcc, v6, s42, v6
	v_fma_f32 v21, -v16, v17, 1.0
	v_fmac_f32_e32 v17, v21, v17
	v_mul_f32_e32 v21, v20, v17
	v_fma_f32 v22, -v16, v21, v20
	v_fmac_f32_e32 v21, v22, v17
	v_fma_f32 v16, -v16, v21, v20
	v_div_fmas_f32 v16, v16, v17, v21
	v_div_fixup_f32 v20, v16, s42, v6
	v_and_b32_e32 v6, 0x7f800000, v20
	v_or_b32_sdwa v16, v20, s85 dst_sel:DWORD dst_unused:UNUSED_PAD src0_sel:BYTE_3 src1_sel:DWORD
	v_cmp_ne_u64_e32 vcc, s[50:51], v[6:7]
	s_and_saveexec_b64 s[0:1], vcc
	s_xor_b64 s[6:7], exec, s[0:1]
	s_cbranch_execz .LBB1_13
; %bb.15:                               ;   in Loop: Header=BB1_14 Depth=2
	v_and_b32_e32 v6, 0x7fffffff, v20
	v_cmp_gt_u64_e32 vcc, s[52:53], v[6:7]
	s_and_saveexec_b64 s[0:1], vcc
	s_xor_b64 s[8:9], exec, s[0:1]
	s_cbranch_execz .LBB1_12
; %bb.16:                               ;   in Loop: Header=BB1_14 Depth=2
	v_cmp_ne_u32_e32 vcc, 0, v20
	v_mov_b32_e32 v16, 0
	s_and_saveexec_b64 s[10:11], vcc
	s_cbranch_execz .LBB1_11
; %bb.17:                               ;   in Loop: Header=BB1_14 Depth=2
	v_bfe_u32 v16, v20, 23, 8
	v_sub_u32_e32 v21, 0x78, v16
	v_cmp_gt_u32_e32 vcc, s76, v16
	v_cndmask_b32_e32 v21, 0, v21, vcc
	v_cmp_eq_u32_e32 vcc, 0, v16
	v_and_b32_e32 v6, 0x7fffff, v20
	v_cndmask_b32_e32 v21, v21, v44, vcc
	v_add_u32_e32 v17, 0xffffff81, v16
	v_or_b32_e32 v22, 0x800000, v6
	v_add_u32_e32 v16, 20, v21
	v_cndmask_b32_e32 v23, v17, v43, vcc
	v_cndmask_b32_e32 v6, v22, v6, vcc
	v_lshlrev_b64 v[16:17], v16, -1
	v_not_b32_e32 v16, v16
	v_lshrrev_b64 v[26:27], v21, v[6:7]
	v_and_b32_e32 v16, v6, v16
	v_add_u32_e32 v22, 19, v21
	v_lshrrev_b32_e32 v6, 23, v26
	v_mov_b32_e32 v17, v7
	v_lshlrev_b64 v[24:25], v22, 1
	v_add3_u32 v22, v21, v23, v6
	v_bfe_u32 v6, v26, 20, 1
	v_add_u32_e32 v6, -1, v6
	v_cmp_eq_u64_e32 vcc, v[16:17], v[24:25]
	v_cndmask_b32_e32 v6, 0, v6, vcc
	v_add_u32_e32 v6, v6, v26
	v_and_b32_e32 v6, 0xfffff, v6
	v_add_co_u32_e32 v16, vcc, v6, v26
	v_add_u32_e32 v21, 7, v22
	v_addc_co_u32_e32 v17, vcc, 0, v27, vcc
	v_cmp_ne_u32_e32 vcc, 0, v21
                                        ; implicit-def: $vgpr6
	s_and_saveexec_b64 s[0:1], vcc
	s_xor_b64 s[0:1], exec, s[0:1]
; %bb.18:                               ;   in Loop: Header=BB1_14 Depth=2
	v_add_u32_e32 v6, 8, v22
	v_cmp_lt_u64_e32 vcc, s[54:55], v[16:17]
	v_cndmask_b32_e32 v6, v21, v6, vcc
	v_cndmask_b32_e64 v21, 0, 1, vcc
	v_lshrrev_b64 v[16:17], v21, v[16:17]
; %bb.19:                               ;   in Loop: Header=BB1_14 Depth=2
	s_andn2_saveexec_b64 s[0:1], s[0:1]
	s_cbranch_execz .LBB1_10
; %bb.20:                               ;   in Loop: Header=BB1_14 Depth=2
	v_bfe_u32 v6, v16, 23, 1
	s_branch .LBB1_10
.LBB1_21:                               ;   in Loop: Header=BB1_7 Depth=1
	s_or_b64 exec, exec, s[2:3]
	v_ashrrev_i32_e32 v15, 31, v14
	v_sub_u32_e32 v38, s41, v14
	v_lshlrev_b64 v[16:17], 1, v[14:15]
	v_ashrrev_i32_e32 v2, 31, v38
	v_add_co_u32_e32 v18, vcc, v18, v16
	v_lshrrev_b32_e32 v2, 29, v2
	v_addc_co_u32_e32 v19, vcc, v19, v17, vcc
	v_add_u32_e32 v2, v38, v2
	v_ashrrev_i32_e32 v39, 3, v2
	v_cmp_lt_i32_e32 vcc, 7, v38
	s_and_saveexec_b64 s[2:3], vcc
	s_cbranch_execz .LBB1_104
; %bb.22:                               ;   in Loop: Header=BB1_7 Depth=1
	v_add_co_u32_e32 v2, vcc, v14, v13
	v_addc_co_u32_e32 v3, vcc, v15, v45, vcc
	v_add_co_u32_e32 v2, vcc, v2, v36
	v_addc_co_u32_e32 v3, vcc, v3, v37, vcc
	v_readlane_b32 s0, v72, 5
	v_mov_b32_e32 v4, s0
	v_add_co_u32_e32 v20, vcc, s78, v2
	v_addc_co_u32_e32 v21, vcc, v4, v3, vcc
	s_mov_b64 s[4:5], 0
	v_pk_mov_b32 v[22:23], v[18:19], v[18:19] op_sel:[0,1]
	v_mov_b32_e32 v40, v39
	s_branch .LBB1_27
.LBB1_23:                               ;   in Loop: Header=BB1_27 Depth=2
	s_or_b64 exec, exec, s[0:1]
	v_lshrrev_b64 v[4:5], 20, v[4:5]
	v_cmp_gt_i32_e32 vcc, 16, v6
	v_and_b32_sdwa v3, v3, s84 dst_sel:DWORD dst_unused:UNUSED_PAD src0_sel:BYTE_3 src1_sel:DWORD
	v_min_i32_e32 v25, 15, v6
	v_cndmask_b32_e32 v5, 0, v5, vcc
	v_cndmask_b32_e32 v4, 7, v4, vcc
	v_cmp_eq_u32_e32 vcc, 0, v6
	v_cmp_eq_u64_e64 s[0:1], 0, v[4:5]
	v_lshl_or_b32 v3, v25, 3, v3
	v_and_or_b32 v3, v4, 7, v3
	s_and_b64 s[0:1], vcc, s[0:1]
	v_cndmask_b32_e64 v4, v3, 0, s[0:1]
.LBB1_24:                               ;   in Loop: Header=BB1_27 Depth=2
	s_or_b64 exec, exec, s[10:11]
.LBB1_25:                               ;   in Loop: Header=BB1_27 Depth=2
	s_andn2_saveexec_b64 s[0:1], s[8:9]
	s_or_b64 exec, exec, s[0:1]
.LBB1_26:                               ;   in Loop: Header=BB1_27 Depth=2
	s_andn2_saveexec_b64 s[0:1], s[6:7]
	s_or_b64 exec, exec, s[0:1]
	v_lshlrev_b32_e32 v3, 24, v4
	v_lshlrev_b32_e32 v4, 16, v34
	v_and_b32_e32 v4, 0xff0000, v4
	v_or_b32_e32 v3, v3, v4
	v_lshlrev_b32_e32 v4, 8, v32
	v_and_b32_e32 v4, 0xff00, v4
	v_and_b32_e32 v5, 0xff, v30
	v_or3_b32 v3, v3, v4, v5
	v_lshlrev_b32_e32 v4, 16, v28
	v_lshlrev_b32_e32 v5, 8, v26
	v_perm_b32 v2, v2, v4, s81
	v_and_or_b32 v2, v5, s74, v2
	v_or_b32_sdwa v2, v2, v24 dst_sel:DWORD dst_unused:UNUSED_PAD src0_sel:DWORD src1_sel:BYTE_0
	global_store_dwordx2 v[20:21], v[2:3], off
	v_add_co_u32_e32 v20, vcc, 8, v20
	v_add_u32_e32 v40, -1, v40
	v_addc_co_u32_e32 v21, vcc, 0, v21, vcc
	v_cmp_eq_u32_e32 vcc, 0, v40
	s_or_b64 s[4:5], vcc, s[4:5]
	v_add_co_u32_e32 v22, vcc, 16, v22
	v_addc_co_u32_e32 v23, vcc, 0, v23, vcc
	s_andn2_b64 exec, exec, s[4:5]
	s_cbranch_execz .LBB1_104
.LBB1_27:                               ;   Parent Loop BB1_7 Depth=1
                                        ; =>  This Inner Loop Header: Depth=2
	global_load_dwordx4 v[2:5], v[22:23], off
	s_waitcnt vmcnt(0)
	v_lshlrev_b32_e32 v6, 16, v2
	v_div_scale_f32 v24, s[0:1], s42, s42, v6
	v_rcp_f32_e32 v25, v24
	v_div_scale_f32 v26, vcc, v6, s42, v6
	v_fma_f32 v27, -v24, v25, 1.0
	v_fmac_f32_e32 v25, v27, v25
	v_mul_f32_e32 v27, v26, v25
	v_fma_f32 v28, -v24, v27, v26
	v_fmac_f32_e32 v27, v28, v25
	v_fma_f32 v24, -v24, v27, v26
	v_div_fmas_f32 v24, v24, v25, v27
	v_div_fixup_f32 v26, v24, s42, v6
	v_and_b32_e32 v6, 0x7f800000, v26
	v_or_b32_sdwa v24, v26, s85 dst_sel:DWORD dst_unused:UNUSED_PAD src0_sel:BYTE_3 src1_sel:DWORD
	v_cmp_ne_u64_e32 vcc, s[50:51], v[6:7]
	s_and_saveexec_b64 s[0:1], vcc
	s_xor_b64 s[6:7], exec, s[0:1]
	s_cbranch_execz .LBB1_37
; %bb.28:                               ;   in Loop: Header=BB1_27 Depth=2
	v_and_b32_e32 v6, 0x7fffffff, v26
	v_cmp_gt_u64_e32 vcc, s[52:53], v[6:7]
	s_and_saveexec_b64 s[0:1], vcc
	s_xor_b64 s[8:9], exec, s[0:1]
	s_cbranch_execz .LBB1_36
; %bb.29:                               ;   in Loop: Header=BB1_27 Depth=2
	v_cmp_ne_u32_e32 vcc, 0, v26
	v_pk_mov_b32 v[24:25], 0, 0
	s_and_saveexec_b64 s[10:11], vcc
	s_cbranch_execz .LBB1_35
; %bb.30:                               ;   in Loop: Header=BB1_27 Depth=2
	v_bfe_u32 v24, v26, 23, 8
	v_sub_u32_e32 v27, 0x78, v24
	v_cmp_gt_u32_e32 vcc, s76, v24
	v_cndmask_b32_e32 v27, 0, v27, vcc
	v_cmp_eq_u32_e32 vcc, 0, v24
	v_and_b32_e32 v6, 0x7fffff, v26
	v_cndmask_b32_e32 v27, v27, v44, vcc
	v_add_u32_e32 v25, 0xffffff81, v24
	v_or_b32_e32 v28, 0x800000, v6
	v_add_u32_e32 v24, 20, v27
	v_cndmask_b32_e32 v29, v25, v43, vcc
	v_cndmask_b32_e32 v6, v28, v6, vcc
	v_lshlrev_b64 v[24:25], v24, -1
	v_not_b32_e32 v24, v24
	v_lshrrev_b64 v[32:33], v27, v[6:7]
	v_and_b32_e32 v24, v6, v24
	v_add_u32_e32 v28, 19, v27
	v_lshrrev_b32_e32 v6, 23, v32
	v_mov_b32_e32 v25, v7
	v_lshlrev_b64 v[30:31], v28, 1
	v_add3_u32 v28, v27, v29, v6
	v_bfe_u32 v6, v32, 20, 1
	v_add_u32_e32 v6, -1, v6
	v_cmp_eq_u64_e32 vcc, v[24:25], v[30:31]
	v_cndmask_b32_e32 v6, 0, v6, vcc
	v_add_u32_e32 v6, v6, v32
	v_and_b32_e32 v6, 0xfffff, v6
	v_add_co_u32_e32 v24, vcc, v6, v32
	v_add_u32_e32 v27, 7, v28
	v_addc_co_u32_e32 v25, vcc, 0, v33, vcc
	v_cmp_ne_u32_e32 vcc, 0, v27
                                        ; implicit-def: $vgpr6
	s_and_saveexec_b64 s[0:1], vcc
	s_xor_b64 s[0:1], exec, s[0:1]
; %bb.31:                               ;   in Loop: Header=BB1_27 Depth=2
	v_add_u32_e32 v6, 8, v28
	v_cmp_lt_u64_e32 vcc, s[54:55], v[24:25]
	v_cndmask_b32_e32 v6, v27, v6, vcc
	v_cndmask_b32_e64 v27, 0, 1, vcc
	v_lshrrev_b64 v[24:25], v27, v[24:25]
; %bb.32:                               ;   in Loop: Header=BB1_27 Depth=2
	s_andn2_saveexec_b64 s[0:1], s[0:1]
; %bb.33:                               ;   in Loop: Header=BB1_27 Depth=2
	v_bfe_u32 v6, v24, 23, 1
; %bb.34:                               ;   in Loop: Header=BB1_27 Depth=2
	s_or_b64 exec, exec, s[0:1]
	v_lshrrev_b64 v[24:25], 20, v[24:25]
	v_cmp_gt_i32_e32 vcc, 16, v6
	v_and_b32_sdwa v26, v26, s84 dst_sel:DWORD dst_unused:UNUSED_PAD src0_sel:BYTE_3 src1_sel:DWORD
	v_min_i32_e32 v27, 15, v6
	v_cndmask_b32_e32 v25, 0, v25, vcc
	v_cndmask_b32_e32 v24, 7, v24, vcc
	v_cmp_eq_u32_e32 vcc, 0, v6
	v_cmp_eq_u64_e64 s[0:1], 0, v[24:25]
	v_lshl_or_b32 v6, v27, 3, v26
	v_and_or_b32 v6, v24, 7, v6
	s_and_b64 s[0:1], vcc, s[0:1]
	v_cndmask_b32_e64 v24, v6, 0, s[0:1]
.LBB1_35:                               ;   in Loop: Header=BB1_27 Depth=2
	s_or_b64 exec, exec, s[10:11]
.LBB1_36:                               ;   in Loop: Header=BB1_27 Depth=2
	s_andn2_saveexec_b64 s[0:1], s[8:9]
	s_or_b64 exec, exec, s[0:1]
.LBB1_37:                               ;   in Loop: Header=BB1_27 Depth=2
	s_andn2_saveexec_b64 s[0:1], s[6:7]
	s_or_b64 exec, exec, s[0:1]
	v_and_b32_e32 v2, 0xffff0000, v2
	v_div_scale_f32 v6, s[0:1], s42, s42, v2
	v_rcp_f32_e32 v25, v6
	v_div_scale_f32 v26, vcc, v2, s42, v2
	v_fma_f32 v27, -v6, v25, 1.0
	v_fmac_f32_e32 v25, v27, v25
	v_mul_f32_e32 v27, v26, v25
	v_fma_f32 v28, -v6, v27, v26
	v_fmac_f32_e32 v27, v28, v25
	v_fma_f32 v6, -v6, v27, v26
	v_div_fmas_f32 v6, v6, v25, v27
	v_div_fixup_f32 v2, v6, s42, v2
	v_and_b32_e32 v6, 0x7f800000, v2
	v_or_b32_sdwa v26, v2, s85 dst_sel:DWORD dst_unused:UNUSED_PAD src0_sel:BYTE_3 src1_sel:DWORD
	v_cmp_ne_u64_e32 vcc, s[50:51], v[6:7]
	s_and_saveexec_b64 s[0:1], vcc
	s_xor_b64 s[6:7], exec, s[0:1]
	s_cbranch_execz .LBB1_47
; %bb.38:                               ;   in Loop: Header=BB1_27 Depth=2
	v_and_b32_e32 v6, 0x7fffffff, v2
	v_cmp_gt_u64_e32 vcc, s[52:53], v[6:7]
	s_and_saveexec_b64 s[0:1], vcc
	s_xor_b64 s[8:9], exec, s[0:1]
	s_cbranch_execz .LBB1_46
; %bb.39:                               ;   in Loop: Header=BB1_27 Depth=2
	v_cmp_ne_u32_e32 vcc, 0, v2
	v_pk_mov_b32 v[26:27], 0, 0
	s_and_saveexec_b64 s[10:11], vcc
	s_cbranch_execz .LBB1_45
; %bb.40:                               ;   in Loop: Header=BB1_27 Depth=2
	v_bfe_u32 v25, v2, 23, 8
	v_sub_u32_e32 v27, 0x78, v25
	v_cmp_gt_u32_e32 vcc, s76, v25
	v_cndmask_b32_e32 v27, 0, v27, vcc
	v_cmp_eq_u32_e32 vcc, 0, v25
	v_and_b32_e32 v6, 0x7fffff, v2
	v_add_u32_e32 v26, 0xffffff81, v25
	v_cndmask_b32_e32 v29, v27, v44, vcc
	v_or_b32_e32 v28, 0x800000, v6
	v_cndmask_b32_e32 v25, v26, v43, vcc
	v_add_u32_e32 v26, 20, v29
	v_cndmask_b32_e32 v6, v28, v6, vcc
	v_lshlrev_b64 v[26:27], v26, -1
	v_not_b32_e32 v26, v26
	v_lshrrev_b64 v[32:33], v29, v[6:7]
	v_and_b32_e32 v26, v6, v26
	v_add_u32_e32 v28, 19, v29
	v_lshrrev_b32_e32 v6, 23, v32
	v_mov_b32_e32 v27, v7
	v_lshlrev_b64 v[30:31], v28, 1
	v_add3_u32 v28, v29, v25, v6
	v_bfe_u32 v6, v32, 20, 1
	v_add_u32_e32 v6, -1, v6
	v_cmp_eq_u64_e32 vcc, v[26:27], v[30:31]
	v_cndmask_b32_e32 v6, 0, v6, vcc
	v_add_u32_e32 v6, v6, v32
	v_and_b32_e32 v6, 0xfffff, v6
	v_add_co_u32_e32 v26, vcc, v6, v32
	v_add_u32_e32 v25, 7, v28
	v_addc_co_u32_e32 v27, vcc, 0, v33, vcc
	v_cmp_ne_u32_e32 vcc, 0, v25
                                        ; implicit-def: $vgpr6
	s_and_saveexec_b64 s[0:1], vcc
	s_xor_b64 s[0:1], exec, s[0:1]
; %bb.41:                               ;   in Loop: Header=BB1_27 Depth=2
	v_add_u32_e32 v6, 8, v28
	v_cmp_lt_u64_e32 vcc, s[54:55], v[26:27]
	v_cndmask_b32_e32 v6, v25, v6, vcc
	v_cndmask_b32_e64 v25, 0, 1, vcc
	v_lshrrev_b64 v[26:27], v25, v[26:27]
; %bb.42:                               ;   in Loop: Header=BB1_27 Depth=2
	s_andn2_saveexec_b64 s[0:1], s[0:1]
; %bb.43:                               ;   in Loop: Header=BB1_27 Depth=2
	v_bfe_u32 v6, v26, 23, 1
; %bb.44:                               ;   in Loop: Header=BB1_27 Depth=2
	s_or_b64 exec, exec, s[0:1]
	v_lshrrev_b64 v[26:27], 20, v[26:27]
	v_cmp_gt_i32_e32 vcc, 16, v6
	v_and_b32_sdwa v2, v2, s84 dst_sel:DWORD dst_unused:UNUSED_PAD src0_sel:BYTE_3 src1_sel:DWORD
	v_min_i32_e32 v25, 15, v6
	v_cndmask_b32_e32 v27, 0, v27, vcc
	v_cndmask_b32_e32 v26, 7, v26, vcc
	v_cmp_eq_u32_e32 vcc, 0, v6
	v_cmp_eq_u64_e64 s[0:1], 0, v[26:27]
	v_lshl_or_b32 v2, v25, 3, v2
	v_and_or_b32 v2, v26, 7, v2
	s_and_b64 s[0:1], vcc, s[0:1]
	v_cndmask_b32_e64 v26, v2, 0, s[0:1]
.LBB1_45:                               ;   in Loop: Header=BB1_27 Depth=2
	s_or_b64 exec, exec, s[10:11]
.LBB1_46:                               ;   in Loop: Header=BB1_27 Depth=2
	s_andn2_saveexec_b64 s[0:1], s[8:9]
	s_or_b64 exec, exec, s[0:1]
.LBB1_47:                               ;   in Loop: Header=BB1_27 Depth=2
	s_andn2_saveexec_b64 s[0:1], s[6:7]
	s_or_b64 exec, exec, s[0:1]
	v_lshlrev_b32_e32 v2, 16, v3
	v_div_scale_f32 v6, s[0:1], s42, s42, v2
	v_rcp_f32_e32 v25, v6
	v_div_scale_f32 v27, vcc, v2, s42, v2
	v_fma_f32 v28, -v6, v25, 1.0
	v_fmac_f32_e32 v25, v28, v25
	v_mul_f32_e32 v28, v27, v25
	v_fma_f32 v29, -v6, v28, v27
	v_fmac_f32_e32 v28, v29, v25
	v_fma_f32 v6, -v6, v28, v27
	v_div_fmas_f32 v6, v6, v25, v28
	v_div_fixup_f32 v2, v6, s42, v2
	v_and_b32_e32 v6, 0x7f800000, v2
	v_or_b32_sdwa v28, v2, s85 dst_sel:DWORD dst_unused:UNUSED_PAD src0_sel:BYTE_3 src1_sel:DWORD
	v_cmp_ne_u64_e32 vcc, s[50:51], v[6:7]
	s_and_saveexec_b64 s[0:1], vcc
	s_xor_b64 s[6:7], exec, s[0:1]
	s_cbranch_execz .LBB1_57
; %bb.48:                               ;   in Loop: Header=BB1_27 Depth=2
	v_and_b32_e32 v6, 0x7fffffff, v2
	v_cmp_gt_u64_e32 vcc, s[52:53], v[6:7]
	s_and_saveexec_b64 s[0:1], vcc
	s_xor_b64 s[8:9], exec, s[0:1]
	s_cbranch_execz .LBB1_56
; %bb.49:                               ;   in Loop: Header=BB1_27 Depth=2
	v_cmp_ne_u32_e32 vcc, 0, v2
	v_pk_mov_b32 v[28:29], 0, 0
	s_and_saveexec_b64 s[10:11], vcc
	s_cbranch_execz .LBB1_55
; %bb.50:                               ;   in Loop: Header=BB1_27 Depth=2
	v_bfe_u32 v25, v2, 23, 8
	v_sub_u32_e32 v28, 0x78, v25
	v_cmp_gt_u32_e32 vcc, s76, v25
	v_add_u32_e32 v27, 0xffffff81, v25
	v_cndmask_b32_e32 v28, 0, v28, vcc
	v_cmp_eq_u32_e32 vcc, 0, v25
	v_and_b32_e32 v6, 0x7fffff, v2
	v_cndmask_b32_e32 v25, v27, v43, vcc
	v_cndmask_b32_e32 v27, v28, v44, vcc
	v_or_b32_e32 v29, 0x800000, v6
	v_add_u32_e32 v28, 20, v27
	v_cndmask_b32_e32 v6, v29, v6, vcc
	v_lshlrev_b64 v[28:29], v28, -1
	v_not_b32_e32 v28, v28
	v_lshrrev_b64 v[32:33], v27, v[6:7]
	v_and_b32_e32 v28, v6, v28
	v_add_u32_e32 v30, 19, v27
	v_lshrrev_b32_e32 v6, 23, v32
	v_mov_b32_e32 v29, v7
	v_lshlrev_b64 v[30:31], v30, 1
	v_add3_u32 v27, v27, v25, v6
	v_bfe_u32 v6, v32, 20, 1
	v_add_u32_e32 v6, -1, v6
	v_cmp_eq_u64_e32 vcc, v[28:29], v[30:31]
	v_cndmask_b32_e32 v6, 0, v6, vcc
	v_add_u32_e32 v6, v6, v32
	v_and_b32_e32 v6, 0xfffff, v6
	v_add_co_u32_e32 v28, vcc, v6, v32
	v_add_u32_e32 v25, 7, v27
	v_addc_co_u32_e32 v29, vcc, 0, v33, vcc
	v_cmp_ne_u32_e32 vcc, 0, v25
                                        ; implicit-def: $vgpr6
	s_and_saveexec_b64 s[0:1], vcc
	s_xor_b64 s[0:1], exec, s[0:1]
; %bb.51:                               ;   in Loop: Header=BB1_27 Depth=2
	v_add_u32_e32 v6, 8, v27
	v_cmp_lt_u64_e32 vcc, s[54:55], v[28:29]
	v_cndmask_b32_e32 v6, v25, v6, vcc
	v_cndmask_b32_e64 v25, 0, 1, vcc
	v_lshrrev_b64 v[28:29], v25, v[28:29]
; %bb.52:                               ;   in Loop: Header=BB1_27 Depth=2
	s_andn2_saveexec_b64 s[0:1], s[0:1]
; %bb.53:                               ;   in Loop: Header=BB1_27 Depth=2
	v_bfe_u32 v6, v28, 23, 1
; %bb.54:                               ;   in Loop: Header=BB1_27 Depth=2
	s_or_b64 exec, exec, s[0:1]
	v_lshrrev_b64 v[28:29], 20, v[28:29]
	v_cmp_gt_i32_e32 vcc, 16, v6
	v_and_b32_sdwa v2, v2, s84 dst_sel:DWORD dst_unused:UNUSED_PAD src0_sel:BYTE_3 src1_sel:DWORD
	v_min_i32_e32 v25, 15, v6
	v_cndmask_b32_e32 v29, 0, v29, vcc
	v_cndmask_b32_e32 v28, 7, v28, vcc
	v_cmp_eq_u32_e32 vcc, 0, v6
	v_cmp_eq_u64_e64 s[0:1], 0, v[28:29]
	v_lshl_or_b32 v2, v25, 3, v2
	v_and_or_b32 v2, v28, 7, v2
	s_and_b64 s[0:1], vcc, s[0:1]
	v_cndmask_b32_e64 v28, v2, 0, s[0:1]
.LBB1_55:                               ;   in Loop: Header=BB1_27 Depth=2
	s_or_b64 exec, exec, s[10:11]
.LBB1_56:                               ;   in Loop: Header=BB1_27 Depth=2
	s_andn2_saveexec_b64 s[0:1], s[8:9]
	s_or_b64 exec, exec, s[0:1]
.LBB1_57:                               ;   in Loop: Header=BB1_27 Depth=2
	s_andn2_saveexec_b64 s[0:1], s[6:7]
	s_or_b64 exec, exec, s[0:1]
	v_and_b32_e32 v2, 0xffff0000, v3
	v_div_scale_f32 v3, s[0:1], s42, s42, v2
	v_rcp_f32_e32 v6, v3
	v_div_scale_f32 v25, vcc, v2, s42, v2
	v_fma_f32 v27, -v3, v6, 1.0
	v_fmac_f32_e32 v6, v27, v6
	v_mul_f32_e32 v27, v25, v6
	v_fma_f32 v29, -v3, v27, v25
	v_fmac_f32_e32 v27, v29, v6
	v_fma_f32 v3, -v3, v27, v25
	v_div_fmas_f32 v3, v3, v6, v27
	v_div_fixup_f32 v25, v3, s42, v2
	v_and_b32_e32 v6, 0x7f800000, v25
	v_or_b32_sdwa v2, v25, s85 dst_sel:DWORD dst_unused:UNUSED_PAD src0_sel:BYTE_3 src1_sel:DWORD
	v_cmp_ne_u64_e32 vcc, s[50:51], v[6:7]
	s_and_saveexec_b64 s[0:1], vcc
	s_xor_b64 s[6:7], exec, s[0:1]
	s_cbranch_execz .LBB1_67
; %bb.58:                               ;   in Loop: Header=BB1_27 Depth=2
	v_and_b32_e32 v6, 0x7fffffff, v25
	v_cmp_gt_u64_e32 vcc, s[52:53], v[6:7]
	s_and_saveexec_b64 s[0:1], vcc
	s_xor_b64 s[8:9], exec, s[0:1]
	s_cbranch_execz .LBB1_66
; %bb.59:                               ;   in Loop: Header=BB1_27 Depth=2
	v_cmp_ne_u32_e32 vcc, 0, v25
	v_pk_mov_b32 v[2:3], 0, 0
	s_and_saveexec_b64 s[10:11], vcc
	s_cbranch_execz .LBB1_65
; %bb.60:                               ;   in Loop: Header=BB1_27 Depth=2
	v_bfe_u32 v3, v25, 23, 8
	v_sub_u32_e32 v27, 0x78, v3
	v_cmp_gt_u32_e32 vcc, s76, v3
	v_and_b32_e32 v2, 0x7fffff, v25
	v_cndmask_b32_e32 v27, 0, v27, vcc
	v_cmp_eq_u32_e32 vcc, 0, v3
	v_add_u32_e32 v6, 0xffffff81, v3
	v_or_b32_e32 v29, 0x800000, v2
	v_cndmask_b32_e32 v27, v27, v44, vcc
	v_cndmask_b32_e32 v34, v6, v43, vcc
	;; [unrolled: 1-line block ×3, first 2 shown]
	v_add_u32_e32 v2, 20, v27
	v_lshlrev_b64 v[2:3], v2, -1
	v_not_b32_e32 v2, v2
	v_lshrrev_b64 v[32:33], v27, v[6:7]
	v_and_b32_e32 v2, v6, v2
	v_add_u32_e32 v29, 19, v27
	v_lshrrev_b32_e32 v6, 23, v32
	v_mov_b32_e32 v3, v7
	v_lshlrev_b64 v[30:31], v29, 1
	v_add3_u32 v29, v27, v34, v6
	v_bfe_u32 v6, v32, 20, 1
	v_add_u32_e32 v6, -1, v6
	v_cmp_eq_u64_e32 vcc, v[2:3], v[30:31]
	v_cndmask_b32_e32 v2, 0, v6, vcc
	v_add_u32_e32 v2, v2, v32
	v_and_b32_e32 v2, 0xfffff, v2
	v_add_co_u32_e32 v2, vcc, v2, v32
	v_add_u32_e32 v27, 7, v29
	v_addc_co_u32_e32 v3, vcc, 0, v33, vcc
	v_cmp_ne_u32_e32 vcc, 0, v27
                                        ; implicit-def: $vgpr6
	s_and_saveexec_b64 s[0:1], vcc
	s_xor_b64 s[0:1], exec, s[0:1]
; %bb.61:                               ;   in Loop: Header=BB1_27 Depth=2
	v_add_u32_e32 v6, 8, v29
	v_cmp_lt_u64_e32 vcc, s[54:55], v[2:3]
	v_cndmask_b32_e32 v6, v27, v6, vcc
	v_cndmask_b32_e64 v27, 0, 1, vcc
	v_lshrrev_b64 v[2:3], v27, v[2:3]
; %bb.62:                               ;   in Loop: Header=BB1_27 Depth=2
	s_andn2_saveexec_b64 s[0:1], s[0:1]
; %bb.63:                               ;   in Loop: Header=BB1_27 Depth=2
	v_bfe_u32 v6, v2, 23, 1
; %bb.64:                               ;   in Loop: Header=BB1_27 Depth=2
	s_or_b64 exec, exec, s[0:1]
	v_lshrrev_b64 v[2:3], 20, v[2:3]
	v_cmp_gt_i32_e32 vcc, 16, v6
	v_and_b32_sdwa v25, v25, s84 dst_sel:DWORD dst_unused:UNUSED_PAD src0_sel:BYTE_3 src1_sel:DWORD
	v_min_i32_e32 v27, 15, v6
	v_cndmask_b32_e32 v3, 0, v3, vcc
	v_cndmask_b32_e32 v2, 7, v2, vcc
	v_cmp_eq_u32_e32 vcc, 0, v6
	v_cmp_eq_u64_e64 s[0:1], 0, v[2:3]
	v_lshl_or_b32 v3, v27, 3, v25
	v_and_or_b32 v2, v2, 7, v3
	s_and_b64 s[0:1], vcc, s[0:1]
	v_cndmask_b32_e64 v2, v2, 0, s[0:1]
.LBB1_65:                               ;   in Loop: Header=BB1_27 Depth=2
	s_or_b64 exec, exec, s[10:11]
.LBB1_66:                               ;   in Loop: Header=BB1_27 Depth=2
	s_andn2_saveexec_b64 s[0:1], s[8:9]
	s_or_b64 exec, exec, s[0:1]
.LBB1_67:                               ;   in Loop: Header=BB1_27 Depth=2
	s_andn2_saveexec_b64 s[0:1], s[6:7]
	s_or_b64 exec, exec, s[0:1]
	v_lshlrev_b32_e32 v3, 16, v4
	v_div_scale_f32 v6, s[0:1], s42, s42, v3
	v_rcp_f32_e32 v25, v6
	v_div_scale_f32 v27, vcc, v3, s42, v3
	v_fma_f32 v29, -v6, v25, 1.0
	v_fmac_f32_e32 v25, v29, v25
	v_mul_f32_e32 v29, v27, v25
	v_fma_f32 v30, -v6, v29, v27
	v_fmac_f32_e32 v29, v30, v25
	v_fma_f32 v6, -v6, v29, v27
	v_div_fmas_f32 v6, v6, v25, v29
	v_div_fixup_f32 v3, v6, s42, v3
	v_and_b32_e32 v6, 0x7f800000, v3
	v_or_b32_sdwa v30, v3, s85 dst_sel:DWORD dst_unused:UNUSED_PAD src0_sel:BYTE_3 src1_sel:DWORD
	v_cmp_ne_u64_e32 vcc, s[50:51], v[6:7]
	s_and_saveexec_b64 s[0:1], vcc
	s_xor_b64 s[6:7], exec, s[0:1]
	s_cbranch_execz .LBB1_77
; %bb.68:                               ;   in Loop: Header=BB1_27 Depth=2
	v_and_b32_e32 v6, 0x7fffffff, v3
	v_cmp_gt_u64_e32 vcc, s[52:53], v[6:7]
	s_and_saveexec_b64 s[0:1], vcc
	s_xor_b64 s[8:9], exec, s[0:1]
	s_cbranch_execz .LBB1_76
; %bb.69:                               ;   in Loop: Header=BB1_27 Depth=2
	v_cmp_ne_u32_e32 vcc, 0, v3
	v_pk_mov_b32 v[30:31], 0, 0
	s_and_saveexec_b64 s[10:11], vcc
	s_cbranch_execz .LBB1_75
; %bb.70:                               ;   in Loop: Header=BB1_27 Depth=2
	v_bfe_u32 v25, v3, 23, 8
	v_sub_u32_e32 v29, 0x78, v25
	v_cmp_gt_u32_e32 vcc, s76, v25
	v_add_u32_e32 v27, 0xffffff81, v25
	v_cndmask_b32_e32 v29, 0, v29, vcc
	v_cmp_eq_u32_e32 vcc, 0, v25
	v_and_b32_e32 v6, 0x7fffff, v3
	v_cndmask_b32_e32 v25, v27, v43, vcc
	v_cndmask_b32_e32 v27, v29, v44, vcc
	v_or_b32_e32 v30, 0x800000, v6
	v_add_u32_e32 v29, 20, v27
	v_cndmask_b32_e32 v6, v30, v6, vcc
	v_lshlrev_b64 v[30:31], v29, -1
	v_not_b32_e32 v29, v30
	v_lshrrev_b64 v[34:35], v27, v[6:7]
	v_and_b32_e32 v30, v6, v29
	v_add_u32_e32 v29, 19, v27
	v_lshrrev_b32_e32 v6, 23, v34
	v_mov_b32_e32 v31, v7
	v_lshlrev_b64 v[32:33], v29, 1
	v_add3_u32 v27, v27, v25, v6
	v_bfe_u32 v6, v34, 20, 1
	v_add_u32_e32 v6, -1, v6
	v_cmp_eq_u64_e32 vcc, v[30:31], v[32:33]
	v_cndmask_b32_e32 v6, 0, v6, vcc
	v_add_u32_e32 v6, v6, v34
	v_and_b32_e32 v6, 0xfffff, v6
	v_add_co_u32_e32 v30, vcc, v6, v34
	v_add_u32_e32 v25, 7, v27
	v_addc_co_u32_e32 v31, vcc, 0, v35, vcc
	v_cmp_ne_u32_e32 vcc, 0, v25
                                        ; implicit-def: $vgpr6
	s_and_saveexec_b64 s[0:1], vcc
	s_xor_b64 s[0:1], exec, s[0:1]
; %bb.71:                               ;   in Loop: Header=BB1_27 Depth=2
	v_add_u32_e32 v6, 8, v27
	v_cmp_lt_u64_e32 vcc, s[54:55], v[30:31]
	v_cndmask_b32_e32 v6, v25, v6, vcc
	v_cndmask_b32_e64 v25, 0, 1, vcc
	v_lshrrev_b64 v[30:31], v25, v[30:31]
; %bb.72:                               ;   in Loop: Header=BB1_27 Depth=2
	s_andn2_saveexec_b64 s[0:1], s[0:1]
; %bb.73:                               ;   in Loop: Header=BB1_27 Depth=2
	v_bfe_u32 v6, v30, 23, 1
; %bb.74:                               ;   in Loop: Header=BB1_27 Depth=2
	s_or_b64 exec, exec, s[0:1]
	v_lshrrev_b64 v[30:31], 20, v[30:31]
	v_cmp_gt_i32_e32 vcc, 16, v6
	v_and_b32_sdwa v3, v3, s84 dst_sel:DWORD dst_unused:UNUSED_PAD src0_sel:BYTE_3 src1_sel:DWORD
	v_min_i32_e32 v25, 15, v6
	v_cndmask_b32_e32 v31, 0, v31, vcc
	v_cndmask_b32_e32 v30, 7, v30, vcc
	v_cmp_eq_u32_e32 vcc, 0, v6
	v_cmp_eq_u64_e64 s[0:1], 0, v[30:31]
	v_lshl_or_b32 v3, v25, 3, v3
	v_and_or_b32 v3, v30, 7, v3
	s_and_b64 s[0:1], vcc, s[0:1]
	v_cndmask_b32_e64 v30, v3, 0, s[0:1]
.LBB1_75:                               ;   in Loop: Header=BB1_27 Depth=2
	s_or_b64 exec, exec, s[10:11]
.LBB1_76:                               ;   in Loop: Header=BB1_27 Depth=2
	s_andn2_saveexec_b64 s[0:1], s[8:9]
	s_or_b64 exec, exec, s[0:1]
.LBB1_77:                               ;   in Loop: Header=BB1_27 Depth=2
	s_andn2_saveexec_b64 s[0:1], s[6:7]
	s_or_b64 exec, exec, s[0:1]
	v_and_b32_e32 v3, 0xffff0000, v4
	v_div_scale_f32 v4, s[0:1], s42, s42, v3
	v_rcp_f32_e32 v6, v4
	v_div_scale_f32 v25, vcc, v3, s42, v3
	v_fma_f32 v27, -v4, v6, 1.0
	v_fmac_f32_e32 v6, v27, v6
	v_mul_f32_e32 v27, v25, v6
	v_fma_f32 v29, -v4, v27, v25
	v_fmac_f32_e32 v27, v29, v6
	v_fma_f32 v4, -v4, v27, v25
	v_div_fmas_f32 v4, v4, v6, v27
	v_div_fixup_f32 v3, v4, s42, v3
	v_and_b32_e32 v6, 0x7f800000, v3
	v_or_b32_sdwa v32, v3, s85 dst_sel:DWORD dst_unused:UNUSED_PAD src0_sel:BYTE_3 src1_sel:DWORD
	v_cmp_ne_u64_e32 vcc, s[50:51], v[6:7]
	s_and_saveexec_b64 s[0:1], vcc
	s_xor_b64 s[6:7], exec, s[0:1]
	s_cbranch_execz .LBB1_87
; %bb.78:                               ;   in Loop: Header=BB1_27 Depth=2
	v_and_b32_e32 v6, 0x7fffffff, v3
	v_cmp_gt_u64_e32 vcc, s[52:53], v[6:7]
	s_and_saveexec_b64 s[0:1], vcc
	s_xor_b64 s[8:9], exec, s[0:1]
	s_cbranch_execz .LBB1_86
; %bb.79:                               ;   in Loop: Header=BB1_27 Depth=2
	v_cmp_ne_u32_e32 vcc, 0, v3
	v_pk_mov_b32 v[32:33], 0, 0
	s_and_saveexec_b64 s[10:11], vcc
	s_cbranch_execz .LBB1_85
; %bb.80:                               ;   in Loop: Header=BB1_27 Depth=2
	v_bfe_u32 v6, v3, 23, 8
	v_sub_u32_e32 v27, 0x78, v6
	v_cmp_gt_u32_e32 vcc, s76, v6
	v_and_b32_e32 v4, 0x7fffff, v3
	v_cndmask_b32_e32 v27, 0, v27, vcc
	v_cmp_eq_u32_e32 vcc, 0, v6
	v_or_b32_e32 v29, 0x800000, v4
	v_cndmask_b32_e32 v27, v27, v44, vcc
	v_add_u32_e32 v25, 0xffffff81, v6
	v_cndmask_b32_e32 v6, v29, v4, vcc
	v_add_u32_e32 v4, 20, v27
	v_lshlrev_b64 v[32:33], v4, -1
	v_not_b32_e32 v4, v32
	v_and_b32_e32 v32, v6, v4
	v_add_u32_e32 v4, 19, v27
	v_lshrrev_b64 v[46:47], v27, v[6:7]
	v_cndmask_b32_e32 v25, v25, v43, vcc
	v_lshlrev_b64 v[34:35], v4, 1
	v_lshrrev_b32_e32 v4, 23, v46
	v_mov_b32_e32 v33, v7
	v_add3_u32 v25, v27, v25, v4
	v_bfe_u32 v4, v46, 20, 1
	v_add_u32_e32 v4, -1, v4
	v_cmp_eq_u64_e32 vcc, v[32:33], v[34:35]
	v_cndmask_b32_e32 v4, 0, v4, vcc
	v_add_u32_e32 v4, v4, v46
	v_and_b32_e32 v4, 0xfffff, v4
	v_add_co_u32_e32 v32, vcc, v4, v46
	v_add_u32_e32 v6, 7, v25
	v_addc_co_u32_e32 v33, vcc, 0, v47, vcc
	v_cmp_ne_u32_e32 vcc, 0, v6
                                        ; implicit-def: $vgpr4
	s_and_saveexec_b64 s[0:1], vcc
	s_xor_b64 s[0:1], exec, s[0:1]
; %bb.81:                               ;   in Loop: Header=BB1_27 Depth=2
	v_add_u32_e32 v4, 8, v25
	v_cmp_lt_u64_e32 vcc, s[54:55], v[32:33]
	v_cndmask_b32_e32 v4, v6, v4, vcc
	v_cndmask_b32_e64 v6, 0, 1, vcc
	v_lshrrev_b64 v[32:33], v6, v[32:33]
; %bb.82:                               ;   in Loop: Header=BB1_27 Depth=2
	s_andn2_saveexec_b64 s[0:1], s[0:1]
; %bb.83:                               ;   in Loop: Header=BB1_27 Depth=2
	v_bfe_u32 v4, v32, 23, 1
; %bb.84:                               ;   in Loop: Header=BB1_27 Depth=2
	s_or_b64 exec, exec, s[0:1]
	v_lshrrev_b64 v[32:33], 20, v[32:33]
	v_cmp_gt_i32_e32 vcc, 16, v4
	v_and_b32_sdwa v3, v3, s84 dst_sel:DWORD dst_unused:UNUSED_PAD src0_sel:BYTE_3 src1_sel:DWORD
	v_min_i32_e32 v6, 15, v4
	v_cndmask_b32_e32 v33, 0, v33, vcc
	v_cndmask_b32_e32 v32, 7, v32, vcc
	v_cmp_eq_u32_e32 vcc, 0, v4
	v_cmp_eq_u64_e64 s[0:1], 0, v[32:33]
	v_lshl_or_b32 v3, v6, 3, v3
	v_and_or_b32 v3, v32, 7, v3
	s_and_b64 s[0:1], vcc, s[0:1]
	v_cndmask_b32_e64 v32, v3, 0, s[0:1]
.LBB1_85:                               ;   in Loop: Header=BB1_27 Depth=2
	s_or_b64 exec, exec, s[10:11]
.LBB1_86:                               ;   in Loop: Header=BB1_27 Depth=2
	s_andn2_saveexec_b64 s[0:1], s[8:9]
	s_or_b64 exec, exec, s[0:1]
.LBB1_87:                               ;   in Loop: Header=BB1_27 Depth=2
	s_andn2_saveexec_b64 s[0:1], s[6:7]
	s_or_b64 exec, exec, s[0:1]
	v_lshlrev_b32_e32 v3, 16, v5
	v_div_scale_f32 v4, s[0:1], s42, s42, v3
	v_rcp_f32_e32 v6, v4
	v_div_scale_f32 v25, vcc, v3, s42, v3
	v_fma_f32 v27, -v4, v6, 1.0
	v_fmac_f32_e32 v6, v27, v6
	v_mul_f32_e32 v27, v25, v6
	v_fma_f32 v29, -v4, v27, v25
	v_fmac_f32_e32 v27, v29, v6
	v_fma_f32 v4, -v4, v27, v25
	v_div_fmas_f32 v4, v4, v6, v27
	v_div_fixup_f32 v3, v4, s42, v3
	v_and_b32_e32 v6, 0x7f800000, v3
	v_or_b32_sdwa v34, v3, s85 dst_sel:DWORD dst_unused:UNUSED_PAD src0_sel:BYTE_3 src1_sel:DWORD
	v_cmp_ne_u64_e32 vcc, s[50:51], v[6:7]
	s_and_saveexec_b64 s[0:1], vcc
	s_xor_b64 s[6:7], exec, s[0:1]
	s_cbranch_execz .LBB1_97
; %bb.88:                               ;   in Loop: Header=BB1_27 Depth=2
	v_and_b32_e32 v6, 0x7fffffff, v3
	v_cmp_gt_u64_e32 vcc, s[52:53], v[6:7]
	s_and_saveexec_b64 s[0:1], vcc
	s_xor_b64 s[8:9], exec, s[0:1]
	s_cbranch_execz .LBB1_96
; %bb.89:                               ;   in Loop: Header=BB1_27 Depth=2
	v_cmp_ne_u32_e32 vcc, 0, v3
	v_pk_mov_b32 v[34:35], 0, 0
	s_and_saveexec_b64 s[10:11], vcc
	s_cbranch_execz .LBB1_95
; %bb.90:                               ;   in Loop: Header=BB1_27 Depth=2
	v_bfe_u32 v6, v3, 23, 8
	v_sub_u32_e32 v27, 0x78, v6
	v_cmp_gt_u32_e32 vcc, s76, v6
	v_and_b32_e32 v4, 0x7fffff, v3
	v_cndmask_b32_e32 v27, 0, v27, vcc
	v_cmp_eq_u32_e32 vcc, 0, v6
	v_or_b32_e32 v29, 0x800000, v4
	v_cndmask_b32_e32 v27, v27, v44, vcc
	v_add_u32_e32 v25, 0xffffff81, v6
	v_cndmask_b32_e32 v6, v29, v4, vcc
	v_add_u32_e32 v4, 20, v27
	v_lshlrev_b64 v[34:35], v4, -1
	v_not_b32_e32 v4, v34
	v_and_b32_e32 v34, v6, v4
	v_add_u32_e32 v4, 19, v27
	v_lshrrev_b64 v[48:49], v27, v[6:7]
	v_cndmask_b32_e32 v25, v25, v43, vcc
	v_lshlrev_b64 v[46:47], v4, 1
	v_lshrrev_b32_e32 v4, 23, v48
	v_mov_b32_e32 v35, v7
	v_add3_u32 v25, v27, v25, v4
	v_bfe_u32 v4, v48, 20, 1
	v_add_u32_e32 v4, -1, v4
	v_cmp_eq_u64_e32 vcc, v[34:35], v[46:47]
	v_cndmask_b32_e32 v4, 0, v4, vcc
	v_add_u32_e32 v4, v4, v48
	v_and_b32_e32 v4, 0xfffff, v4
	v_add_co_u32_e32 v34, vcc, v4, v48
	v_add_u32_e32 v6, 7, v25
	v_addc_co_u32_e32 v35, vcc, 0, v49, vcc
	v_cmp_ne_u32_e32 vcc, 0, v6
                                        ; implicit-def: $vgpr4
	s_and_saveexec_b64 s[0:1], vcc
	s_xor_b64 s[0:1], exec, s[0:1]
; %bb.91:                               ;   in Loop: Header=BB1_27 Depth=2
	v_add_u32_e32 v4, 8, v25
	v_cmp_lt_u64_e32 vcc, s[54:55], v[34:35]
	v_cndmask_b32_e32 v4, v6, v4, vcc
	v_cndmask_b32_e64 v6, 0, 1, vcc
	v_lshrrev_b64 v[34:35], v6, v[34:35]
; %bb.92:                               ;   in Loop: Header=BB1_27 Depth=2
	s_andn2_saveexec_b64 s[0:1], s[0:1]
; %bb.93:                               ;   in Loop: Header=BB1_27 Depth=2
	v_bfe_u32 v4, v34, 23, 1
; %bb.94:                               ;   in Loop: Header=BB1_27 Depth=2
	s_or_b64 exec, exec, s[0:1]
	v_lshrrev_b64 v[34:35], 20, v[34:35]
	v_cmp_gt_i32_e32 vcc, 16, v4
	v_and_b32_sdwa v3, v3, s84 dst_sel:DWORD dst_unused:UNUSED_PAD src0_sel:BYTE_3 src1_sel:DWORD
	v_min_i32_e32 v6, 15, v4
	v_cndmask_b32_e32 v35, 0, v35, vcc
	v_cndmask_b32_e32 v34, 7, v34, vcc
	v_cmp_eq_u32_e32 vcc, 0, v4
	v_cmp_eq_u64_e64 s[0:1], 0, v[34:35]
	v_lshl_or_b32 v3, v6, 3, v3
	v_and_or_b32 v3, v34, 7, v3
	s_and_b64 s[0:1], vcc, s[0:1]
	v_cndmask_b32_e64 v34, v3, 0, s[0:1]
.LBB1_95:                               ;   in Loop: Header=BB1_27 Depth=2
	s_or_b64 exec, exec, s[10:11]
.LBB1_96:                               ;   in Loop: Header=BB1_27 Depth=2
	s_andn2_saveexec_b64 s[0:1], s[8:9]
	s_or_b64 exec, exec, s[0:1]
.LBB1_97:                               ;   in Loop: Header=BB1_27 Depth=2
	s_andn2_saveexec_b64 s[0:1], s[6:7]
	s_or_b64 exec, exec, s[0:1]
	v_and_b32_e32 v3, 0xffff0000, v5
	v_div_scale_f32 v4, s[0:1], s42, s42, v3
	v_rcp_f32_e32 v5, v4
	v_div_scale_f32 v6, vcc, v3, s42, v3
	v_fma_f32 v25, -v4, v5, 1.0
	v_fmac_f32_e32 v5, v25, v5
	v_mul_f32_e32 v25, v6, v5
	v_fma_f32 v27, -v4, v25, v6
	v_fmac_f32_e32 v25, v27, v5
	v_fma_f32 v4, -v4, v25, v6
	v_div_fmas_f32 v4, v4, v5, v25
	v_div_fixup_f32 v3, v4, s42, v3
	v_and_b32_e32 v6, 0x7f800000, v3
	v_or_b32_sdwa v4, v3, s85 dst_sel:DWORD dst_unused:UNUSED_PAD src0_sel:BYTE_3 src1_sel:DWORD
	v_cmp_ne_u64_e32 vcc, s[50:51], v[6:7]
	s_and_saveexec_b64 s[0:1], vcc
	s_xor_b64 s[6:7], exec, s[0:1]
	s_cbranch_execz .LBB1_26
; %bb.98:                               ;   in Loop: Header=BB1_27 Depth=2
	v_and_b32_e32 v6, 0x7fffffff, v3
	v_cmp_gt_u64_e32 vcc, s[52:53], v[6:7]
	s_and_saveexec_b64 s[0:1], vcc
	s_xor_b64 s[8:9], exec, s[0:1]
	s_cbranch_execz .LBB1_25
; %bb.99:                               ;   in Loop: Header=BB1_27 Depth=2
	v_cmp_ne_u32_e32 vcc, 0, v3
	v_pk_mov_b32 v[4:5], 0, 0
	s_and_saveexec_b64 s[10:11], vcc
	s_cbranch_execz .LBB1_24
; %bb.100:                              ;   in Loop: Header=BB1_27 Depth=2
	v_bfe_u32 v5, v3, 23, 8
	v_sub_u32_e32 v25, 0x78, v5
	v_cmp_gt_u32_e32 vcc, s76, v5
	v_and_b32_e32 v4, 0x7fffff, v3
	v_cndmask_b32_e32 v25, 0, v25, vcc
	v_cmp_eq_u32_e32 vcc, 0, v5
	v_add_u32_e32 v6, 0xffffff81, v5
	v_or_b32_e32 v27, 0x800000, v4
	v_cndmask_b32_e32 v25, v25, v44, vcc
	v_cndmask_b32_e32 v29, v6, v43, vcc
	;; [unrolled: 1-line block ×3, first 2 shown]
	v_add_u32_e32 v4, 20, v25
	v_lshlrev_b64 v[4:5], v4, -1
	v_not_b32_e32 v4, v4
	v_lshrrev_b64 v[48:49], v25, v[6:7]
	v_and_b32_e32 v4, v6, v4
	v_add_u32_e32 v27, 19, v25
	v_lshrrev_b32_e32 v6, 23, v48
	v_mov_b32_e32 v5, v7
	v_lshlrev_b64 v[46:47], v27, 1
	v_add3_u32 v27, v25, v29, v6
	v_bfe_u32 v6, v48, 20, 1
	v_add_u32_e32 v6, -1, v6
	v_cmp_eq_u64_e32 vcc, v[4:5], v[46:47]
	v_cndmask_b32_e32 v4, 0, v6, vcc
	v_add_u32_e32 v4, v4, v48
	v_and_b32_e32 v4, 0xfffff, v4
	v_add_co_u32_e32 v4, vcc, v4, v48
	v_add_u32_e32 v25, 7, v27
	v_addc_co_u32_e32 v5, vcc, 0, v49, vcc
	v_cmp_ne_u32_e32 vcc, 0, v25
                                        ; implicit-def: $vgpr6
	s_and_saveexec_b64 s[0:1], vcc
	s_xor_b64 s[0:1], exec, s[0:1]
; %bb.101:                              ;   in Loop: Header=BB1_27 Depth=2
	v_add_u32_e32 v6, 8, v27
	v_cmp_lt_u64_e32 vcc, s[54:55], v[4:5]
	v_cndmask_b32_e32 v6, v25, v6, vcc
	v_cndmask_b32_e64 v25, 0, 1, vcc
	v_lshrrev_b64 v[4:5], v25, v[4:5]
; %bb.102:                              ;   in Loop: Header=BB1_27 Depth=2
	s_andn2_saveexec_b64 s[0:1], s[0:1]
	s_cbranch_execz .LBB1_23
; %bb.103:                              ;   in Loop: Header=BB1_27 Depth=2
	v_bfe_u32 v6, v4, 23, 1
	s_branch .LBB1_23
.LBB1_104:                              ;   in Loop: Header=BB1_7 Depth=1
	s_or_b64 exec, exec, s[2:3]
	v_lshlrev_b32_e32 v2, 3, v39
	v_cmp_lt_i32_e32 vcc, v2, v38
	s_and_saveexec_b64 s[58:59], vcc
	s_cbranch_execz .LBB1_122
; %bb.105:                              ;   in Loop: Header=BB1_7 Depth=1
	v_add_u32_e32 v3, v14, v2
	v_sub_u32_e32 v3, s41, v3
	v_cmp_lt_u32_e32 vcc, 3, v3
	s_mov_b64 s[0:1], -1
	s_and_saveexec_b64 s[60:61], vcc
	s_cbranch_execz .LBB1_109
; %bb.106:                              ;   in Loop: Header=BB1_7 Depth=1
	v_readlane_b32 s0, v72, 2
	v_mov_b32_e32 v4, s0
	v_readlane_b32 s0, v72, 1
	v_add_co_u32_e32 v5, vcc, s0, v13
	v_addc_co_u32_e32 v4, vcc, v4, v45, vcc
	v_add_co_u32_e32 v5, vcc, v5, v36
	v_readlane_b32 s0, v72, 3
	v_addc_co_u32_e32 v4, vcc, v4, v37, vcc
	v_mov_b32_e32 v6, s0
	v_readlane_b32 s0, v72, 4
	v_add_co_u32_e32 v5, vcc, s0, v5
	v_addc_co_u32_e32 v4, vcc, v4, v6, vcc
	v_add_co_u32_e32 v23, vcc, v5, v14
	v_and_b32_e32 v22, -4, v3
	s_mov_b32 s38, s70
	s_mov_b64 s[48:49], s[34:35]
	s_mov_b64 s[34:35], s[68:69]
	;; [unrolled: 1-line block ×3, first 2 shown]
	s_mov_b32 s31, s30
	s_mov_b32 s30, s63
	v_addc_co_u32_e32 v24, vcc, v4, v15, vcc
	s_mov_b64 s[62:63], 0
	v_mov_b32_e32 v4, v2
	v_mov_b32_e32 v25, v22
.LBB1_107:                              ;   Parent Loop BB1_7 Depth=1
                                        ; =>  This Inner Loop Header: Depth=2
	v_ashrrev_i32_e32 v5, 31, v4
	v_add_co_u32_e32 v20, vcc, v23, v4
	v_addc_co_u32_e32 v21, vcc, v24, v5, vcc
	v_lshlrev_b64 v[26:27], 1, v[4:5]
	v_add_co_u32_e32 v26, vcc, v18, v26
	v_addc_co_u32_e32 v27, vcc, v19, v27, vcc
	global_load_dwordx2 v[26:27], v[26:27], off
	v_mov_b32_e32 v47, v7
	v_mov_b32_e32 v49, v7
	;; [unrolled: 1-line block ×3, first 2 shown]
	v_add_u32_e32 v25, -4, v25
	v_add_u32_e32 v4, 4, v4
	s_waitcnt vmcnt(0)
	v_lshlrev_b32_e32 v5, 16, v27
	v_and_b32_e32 v6, 0xffff0000, v26
	v_lshlrev_b32_e32 v28, 16, v26
	v_and_b32_e32 v26, 0xffff0000, v27
	v_div_scale_f32 v27, s[0:1], s91, s91, v5
	v_rcp_f32_e32 v29, v27
	v_fma_f32 v30, -v27, v29, 1.0
	v_fmac_f32_e32 v29, v30, v29
	v_div_scale_f32 v30, vcc, v5, s91, v5
	v_mul_f32_e32 v31, v30, v29
	v_fma_f32 v32, -v27, v31, v30
	v_fmac_f32_e32 v31, v32, v29
	v_fma_f32 v27, -v27, v31, v30
	v_div_fmas_f32 v27, v27, v29, v31
	v_div_fixup_f32 v5, v27, s91, v5
	v_div_scale_f32 v27, s[0:1], s92, s92, v26
	v_rcp_f32_e32 v29, v27
	v_bfe_u32 v50, v5, 23, 8
	v_cmp_gt_u32_e64 s[22:23], s76, v50
	v_cmp_eq_u32_e64 s[20:21], 0, v50
	v_fma_f32 v30, -v27, v29, 1.0
	v_fmac_f32_e32 v29, v30, v29
	v_div_scale_f32 v30, vcc, v26, s92, v26
	v_mul_f32_e32 v31, v30, v29
	v_fma_f32 v32, -v27, v31, v30
	v_fmac_f32_e32 v31, v32, v29
	v_fma_f32 v27, -v27, v31, v30
	v_div_fmas_f32 v27, v27, v29, v31
	v_div_fixup_f32 v26, v27, s92, v26
	v_div_scale_f32 v27, s[0:1], s87, s87, v28
	v_rcp_f32_e32 v29, v27
	v_bfe_u32 v51, v26, 23, 8
	v_and_b32_e32 v40, 0x7f800000, v26
	v_cmp_gt_u32_e64 s[24:25], s76, v51
	v_fma_f32 v30, -v27, v29, 1.0
	v_fmac_f32_e32 v29, v30, v29
	v_div_scale_f32 v30, vcc, v28, s87, v28
	v_mul_f32_e32 v31, v30, v29
	v_fma_f32 v32, -v27, v31, v30
	v_fmac_f32_e32 v31, v32, v29
	v_fma_f32 v27, -v27, v31, v30
	v_div_fmas_f32 v27, v27, v29, v31
	v_div_fixup_f32 v27, v27, s87, v28
	v_div_scale_f32 v28, s[0:1], s90, s90, v6
	v_rcp_f32_e32 v29, v28
	v_and_b32_e32 v46, 0x7f800000, v27
	v_cmp_ne_u64_e64 s[0:1], s[50:51], v[46:47]
	v_and_b32_e32 v46, 0x7fffffff, v26
	v_fma_f32 v30, -v28, v29, 1.0
	v_fmac_f32_e32 v29, v30, v29
	v_div_scale_f32 v30, vcc, v6, s90, v6
	v_mul_f32_e32 v31, v30, v29
	v_fma_f32 v32, -v28, v31, v30
	v_fmac_f32_e32 v31, v32, v29
	v_fma_f32 v28, -v28, v31, v30
	v_div_fmas_f32 v28, v28, v29, v31
	v_div_fixup_f32 v28, v28, s90, v6
	v_and_b32_e32 v48, 0x7f800000, v28
	v_bfe_u32 v53, v28, 23, 8
	v_cmp_ne_u64_e32 vcc, s[50:51], v[48:49]
	v_and_b32_e32 v48, 0x7fffffff, v27
	v_cmp_gt_u64_e64 s[10:11], s[52:53], v[46:47]
	v_sub_u32_e32 v47, 0x78, v50
	v_bfe_u32 v52, v27, 23, 8
	v_cmp_gt_u64_e64 s[8:9], s[52:53], v[48:49]
	v_add_u32_e32 v46, 0xffffff81, v50
	v_cmp_gt_u32_e64 s[28:29], s76, v53
	v_sub_u32_e32 v48, 0x78, v51
	v_sub_u32_e32 v50, 0x78, v53
	v_cndmask_b32_e64 v47, 0, v47, s[22:23]
	v_and_b32_e32 v33, 0x7fffff, v5
	v_and_b32_e32 v6, 0x7f800000, v5
	v_cmp_ne_u64_e64 s[2:3], s[50:51], v[40:41]
	v_and_b32_e32 v40, 0x7fffffff, v5
	v_cmp_eq_u32_e64 s[14:15], 0, v53
	v_cmp_eq_u32_e64 s[18:19], 0, v51
	v_cmp_gt_u32_e64 s[26:27], s76, v52
	v_sub_u32_e32 v49, 0x78, v52
	v_cndmask_b32_e64 v50, 0, v50, s[28:29]
	v_cndmask_b32_e64 v48, 0, v48, s[24:25]
	;; [unrolled: 1-line block ×3, first 2 shown]
	v_and_b32_e32 v35, 0x7fffff, v28
	v_cmp_ne_u64_e64 s[4:5], s[50:51], v[6:7]
	v_and_b32_e32 v6, 0x7fffffff, v28
	v_cmp_gt_u64_e64 s[12:13], s[52:53], v[40:41]
	v_cmp_eq_u32_e64 s[16:17], 0, v52
	v_add_u32_e32 v41, 0xffffff81, v51
	v_cndmask_b32_e64 v49, 0, v49, s[26:27]
	v_or_b32_e32 v51, 0x800000, v33
	v_cndmask_b32_e64 v69, v48, v44, s[18:19]
	v_cndmask_b32_e64 v71, v50, v44, s[14:15]
	v_add_u32_e32 v48, 20, v68
	v_and_b32_e32 v39, 0x7fffff, v27
	v_and_b32_e32 v34, 0x7fffff, v26
	v_cmp_gt_u64_e64 s[6:7], s[52:53], v[6:7]
	v_add_u32_e32 v6, 0xffffff81, v53
	v_or_b32_e32 v54, 0x800000, v35
	v_cndmask_b32_e64 v64, v46, v43, s[20:21]
	v_cndmask_b32_e64 v70, v49, v44, s[16:17]
	;; [unrolled: 1-line block ×3, first 2 shown]
	v_add_u32_e32 v33, 20, v71
	v_add_u32_e32 v50, 20, v69
	v_lshlrev_b64 v[48:49], v48, -1
	v_add_u32_e32 v40, 0xffffff81, v52
	v_or_b32_e32 v52, 0x800000, v34
	v_or_b32_e32 v53, 0x800000, v39
	v_cndmask_b32_e64 v67, v6, v43, s[14:15]
	v_cndmask_b32_e64 v6, v54, v35, s[14:15]
	v_lshlrev_b64 v[50:51], v50, -1
	v_lshlrev_b64 v[54:55], v33, -1
	v_not_b32_e32 v48, v48
	v_add_u32_e32 v56, 19, v68
	v_cndmask_b32_e64 v66, v40, v43, s[16:17]
	v_cndmask_b32_e64 v40, v53, v39, s[16:17]
	;; [unrolled: 1-line block ×3, first 2 shown]
	v_add_u32_e32 v39, 20, v70
	v_not_b32_e32 v33, v54
	v_not_b32_e32 v50, v50
	v_and_b32_e32 v48, v46, v48
	v_mov_b32_e32 v49, v7
	v_add_u32_e32 v58, 19, v69
	v_lshlrev_b64 v[56:57], v56, 1
	v_lshlrev_b64 v[52:53], v39, -1
	v_and_b32_e32 v50, v34, v50
	v_mov_b32_e32 v51, v7
	v_and_b32_e32 v54, v6, v33
	v_add_u32_e32 v33, 19, v71
	v_lshlrev_b64 v[58:59], v58, 1
	v_cmp_eq_u64_e64 s[20:21], v[48:49], v[56:57]
	v_lshrrev_b64 v[48:49], v71, v[6:7]
	v_cndmask_b32_e64 v65, v41, v43, s[18:19]
	v_mov_b32_e32 v41, v7
	v_not_b32_e32 v39, v52
	v_mov_b32_e32 v55, v7
	v_lshlrev_b64 v[62:63], v33, 1
	v_cmp_eq_u64_e64 s[18:19], v[50:51], v[58:59]
	v_bfe_u32 v58, v48, 20, 1
	v_and_b32_e32 v52, v40, v39
	v_add_u32_e32 v39, 19, v70
	v_cmp_eq_u64_e64 s[14:15], v[54:55], v[62:63]
	v_lshrrev_b64 v[40:41], v70, v[40:41]
	v_add_u32_e32 v58, -1, v58
	v_mov_b32_e32 v35, v7
	v_mov_b32_e32 v53, v7
	v_lshlrev_b64 v[60:61], v39, 1
	v_bfe_u32 v57, v40, 20, 1
	v_cndmask_b32_e64 v58, 0, v58, s[14:15]
	v_cmp_eq_u64_e64 s[16:17], v[52:53], v[60:61]
	v_lshrrev_b64 v[34:35], v69, v[34:35]
	v_add_u32_e32 v57, -1, v57
	v_add_u32_e32 v58, v58, v48
	v_mov_b32_e32 v47, v7
	v_bfe_u32 v56, v34, 20, 1
	v_cndmask_b32_e64 v57, 0, v57, s[16:17]
	v_and_b32_e32 v58, 0xfffff, v58
	v_lshrrev_b64 v[46:47], v68, v[46:47]
	v_lshrrev_b32_e32 v50, 23, v48
	v_add_u32_e32 v56, -1, v56
	v_add_u32_e32 v57, v57, v40
	v_add_co_u32_e64 v48, s[14:15], v58, v48
	v_bfe_u32 v55, v46, 20, 1
	v_cndmask_b32_e64 v56, 0, v56, s[18:19]
	v_and_b32_e32 v57, 0xfffff, v57
	v_addc_co_u32_e64 v49, s[14:15], 0, v49, s[14:15]
	v_lshrrev_b32_e32 v39, 23, v40
	v_add_u32_e32 v55, -1, v55
	v_add_u32_e32 v56, v56, v34
	v_add_co_u32_e64 v40, s[14:15], v57, v40
	v_cndmask_b32_e64 v55, 0, v55, s[20:21]
	v_and_b32_e32 v56, 0xfffff, v56
	v_addc_co_u32_e64 v41, s[14:15], 0, v41, s[14:15]
	v_lshrrev_b32_e32 v33, 23, v34
	v_add_u32_e32 v55, v55, v46
	v_add_co_u32_e64 v34, s[14:15], v56, v34
	v_and_b32_e32 v55, 0xfffff, v55
	v_addc_co_u32_e64 v35, s[14:15], 0, v35, s[14:15]
	v_lshrrev_b32_e32 v6, 23, v46
	v_add3_u32 v50, v71, v67, v50
	v_add_co_u32_e64 v46, s[14:15], v55, v46
	s_and_b64 s[64:65], s[4:5], s[12:13]
	s_and_b64 s[70:71], vcc, s[6:7]
	v_cmp_ne_u32_e64 s[4:5], 0, v28
	v_add3_u32 v39, v70, v66, v39
	v_add_u32_e32 v54, 7, v50
	v_addc_co_u32_e64 v47, s[14:15], 0, v47, s[14:15]
	s_and_b64 s[66:67], s[2:3], s[10:11]
	s_and_b64 s[68:69], s[0:1], s[8:9]
	v_cmp_ne_u32_e64 s[2:3], 0, v27
	s_and_b64 s[4:5], s[70:71], s[4:5]
	v_add3_u32 v33, v69, v65, v33
	v_add_u32_e32 v53, 7, v39
	v_cmp_ne_u32_e64 s[14:15], 0, v54
	v_cmp_lt_u64_e64 s[28:29], s[54:55], v[48:49]
	v_add_u32_e32 v50, 8, v50
	v_cmp_ne_u32_e64 s[0:1], 0, v26
	s_and_b64 s[2:3], s[68:69], s[2:3]
	v_add3_u32 v6, v68, v64, v6
	v_add_u32_e32 v52, 7, v33
	v_cmp_ne_u32_e64 s[16:17], 0, v53
	s_and_b64 s[14:15], s[4:5], s[14:15]
	v_cmp_lt_u64_e64 s[26:27], s[54:55], v[40:41]
	v_add_u32_e32 v39, 8, v39
	v_cndmask_b32_e64 v50, v54, v50, s[28:29]
	v_bfe_u32 v54, v48, 23, 1
	v_cmp_ne_u32_e32 vcc, 0, v5
	s_and_b64 s[0:1], s[66:67], s[0:1]
	v_add_u32_e32 v51, 7, v6
	v_cmp_ne_u32_e64 s[18:19], 0, v52
	s_and_b64 s[16:17], s[2:3], s[16:17]
	v_cmp_lt_u64_e64 s[24:25], s[54:55], v[34:35]
	v_add_u32_e32 v33, 8, v33
	v_cndmask_b32_e64 v39, v53, v39, s[26:27]
	v_bfe_u32 v53, v40, 23, 1
	v_cndmask_b32_e64 v50, v54, v50, s[14:15]
	s_and_b64 s[14:15], s[14:15], s[28:29]
	s_and_b64 vcc, s[64:65], vcc
	v_cmp_ne_u32_e64 s[20:21], 0, v51
	s_and_b64 s[18:19], s[0:1], s[18:19]
	v_cmp_lt_u64_e64 s[22:23], s[54:55], v[46:47]
	v_add_u32_e32 v6, 8, v6
	v_cndmask_b32_e64 v33, v52, v33, s[24:25]
	v_bfe_u32 v52, v34, 23, 1
	v_cndmask_b32_e64 v39, v53, v39, s[16:17]
	s_and_b64 s[16:17], s[16:17], s[26:27]
	v_cndmask_b32_e64 v54, 0, 1, s[14:15]
	s_and_b64 s[20:21], vcc, s[20:21]
	v_cndmask_b32_e64 v6, v51, v6, s[22:23]
	v_bfe_u32 v51, v46, 23, 1
	v_cndmask_b32_e64 v33, v52, v33, s[18:19]
	s_and_b64 s[18:19], s[18:19], s[24:25]
	v_cndmask_b32_e64 v53, 0, 1, s[16:17]
	v_lshrrev_b64 v[48:49], v54, v[48:49]
	v_cndmask_b32_e64 v6, v51, v6, s[20:21]
	s_and_b64 s[20:21], s[20:21], s[22:23]
	v_cndmask_b32_e64 v52, 0, 1, s[18:19]
	v_lshrrev_b64 v[40:41], v53, v[40:41]
	v_lshrrev_b64 v[48:49], 20, v[48:49]
	v_cmp_gt_i32_e64 s[14:15], 16, v50
	v_cndmask_b32_e64 v51, 0, 1, s[20:21]
	v_lshrrev_b64 v[34:35], v52, v[34:35]
	v_lshrrev_b64 v[40:41], 20, v[40:41]
	v_cndmask_b32_e64 v49, 0, v49, s[14:15]
	v_cndmask_b32_e64 v48, 7, v48, s[14:15]
	v_cmp_gt_i32_e64 s[14:15], 16, v39
	v_lshrrev_b64 v[46:47], v51, v[46:47]
	v_lshrrev_b64 v[34:35], 20, v[34:35]
	v_cndmask_b32_e64 v41, 0, v41, s[14:15]
	v_cndmask_b32_e64 v40, 7, v40, s[14:15]
	v_cmp_gt_i32_e64 s[14:15], 16, v33
	v_lshrrev_b64 v[46:47], 20, v[46:47]
	v_cndmask_b32_e64 v35, 0, v35, s[14:15]
	v_cndmask_b32_e64 v34, 7, v34, s[14:15]
	v_cmp_gt_i32_e64 s[14:15], 16, v6
	v_and_b32_sdwa v29, v5, s84 dst_sel:DWORD dst_unused:UNUSED_PAD src0_sel:BYTE_3 src1_sel:DWORD
	v_and_b32_sdwa v30, v26, s84 dst_sel:DWORD dst_unused:UNUSED_PAD src0_sel:BYTE_3 src1_sel:DWORD
	;; [unrolled: 1-line block ×4, first 2 shown]
	v_min_i32_e32 v51, 15, v6
	v_min_i32_e32 v52, 15, v33
	;; [unrolled: 1-line block ×4, first 2 shown]
	v_cndmask_b32_e64 v47, 0, v47, s[14:15]
	v_cndmask_b32_e64 v46, 7, v46, s[14:15]
	v_cmp_eq_u32_e64 s[8:9], 0, v26
	v_cmp_eq_u32_e64 s[12:13], 0, v28
	;; [unrolled: 1-line block ×6, first 2 shown]
	v_cmp_eq_u64_e64 s[22:23], 0, v[46:47]
	v_cmp_eq_u64_e64 s[24:25], 0, v[34:35]
	;; [unrolled: 1-line block ×4, first 2 shown]
	v_lshl_or_b32 v6, v54, 3, v32
	v_lshl_or_b32 v31, v53, 3, v31
	;; [unrolled: 1-line block ×4, first 2 shown]
	v_cmp_eq_u32_e64 s[6:7], 0, v5
	v_cmp_eq_u32_e64 s[10:11], 0, v27
	s_and_b64 s[20:21], s[20:21], s[28:29]
	s_and_b64 s[18:19], s[18:19], s[26:27]
	;; [unrolled: 1-line block ×4, first 2 shown]
	v_and_or_b32 v29, v46, 7, v29
	v_and_or_b32 v30, v34, 7, v30
	;; [unrolled: 1-line block ×4, first 2 shown]
	s_and_b64 s[12:13], s[70:71], s[12:13]
	s_and_b64 s[8:9], s[66:67], s[8:9]
	v_or_b32_sdwa v28, v28, s85 dst_sel:DWORD dst_unused:UNUSED_PAD src0_sel:BYTE_3 src1_sel:DWORD
	v_or_b32_sdwa v26, v26, s85 dst_sel:DWORD dst_unused:UNUSED_PAD src0_sel:BYTE_3 src1_sel:DWORD
	v_cndmask_b32_e64 v6, v29, 0, s[14:15]
	v_cndmask_b32_e64 v29, v30, 0, s[16:17]
	v_cndmask_b32_e64 v30, v31, 0, s[18:19]
	v_cndmask_b32_e64 v31, v32, 0, s[20:21]
	s_and_b64 s[10:11], s[68:69], s[10:11]
	s_and_b64 s[6:7], s[64:65], s[6:7]
	v_or_b32_sdwa v27, v27, s85 dst_sel:DWORD dst_unused:UNUSED_PAD src0_sel:BYTE_3 src1_sel:DWORD
	v_or_b32_sdwa v5, v5, s85 dst_sel:DWORD dst_unused:UNUSED_PAD src0_sel:BYTE_3 src1_sel:DWORD
	v_cndmask_b32_e64 v26, v26, 0, s[8:9]
	v_cndmask_b32_e64 v28, v28, 0, s[12:13]
	;; [unrolled: 1-line block ×6, first 2 shown]
	v_lshlrev_b16_e32 v28, 8, v28
	v_cndmask_b32_e64 v27, v27, v30, s[2:3]
	v_lshlrev_b16_e32 v26, 8, v26
	v_cndmask_b32_e32 v5, v5, v6, vcc
	v_or_b32_sdwa v27, v27, v28 dst_sel:DWORD dst_unused:UNUSED_PAD src0_sel:BYTE_0 src1_sel:DWORD
	v_or_b32_sdwa v5, v5, v26 dst_sel:WORD_1 dst_unused:UNUSED_PAD src0_sel:BYTE_0 src1_sel:DWORD
	v_cmp_eq_u32_e32 vcc, 0, v25
	v_or_b32_sdwa v5, v27, v5 dst_sel:DWORD dst_unused:UNUSED_PAD src0_sel:WORD_0 src1_sel:DWORD
	s_or_b64 s[62:63], vcc, s[62:63]
	global_store_dword v[20:21], v5, off
	s_andn2_b64 exec, exec, s[62:63]
	s_cbranch_execnz .LBB1_107
; %bb.108:                              ;   in Loop: Header=BB1_7 Depth=1
	s_or_b64 exec, exec, s[62:63]
	v_cmp_ne_u32_e32 vcc, v3, v22
	v_add_u32_e32 v2, v2, v22
	s_orn2_b64 s[0:1], vcc, exec
	s_mov_b32 s63, s30
	s_mov_b32 s30, s31
	s_mov_b64 s[64:65], s[36:37]
	s_mov_b64 s[68:69], s[34:35]
	;; [unrolled: 1-line block ×3, first 2 shown]
	s_mov_b32 s70, s38
.LBB1_109:                              ;   in Loop: Header=BB1_7 Depth=1
	s_or_b64 exec, exec, s[60:61]
	s_and_b64 exec, exec, s[0:1]
	s_cbranch_execz .LBB1_122
; %bb.110:                              ;   in Loop: Header=BB1_7 Depth=1
	v_ashrrev_i32_e32 v3, 31, v2
	v_lshlrev_b64 v[4:5], 1, v[2:3]
	v_add_co_u32_e32 v4, vcc, v16, v4
	v_addc_co_u32_e32 v5, vcc, v17, v5, vcc
	v_add_co_u32_e32 v4, vcc, v4, v10
	v_addc_co_u32_e32 v5, vcc, v5, v11, vcc
	;; [unrolled: 2-line block ×3, first 2 shown]
	v_readlane_b32 s0, v72, 8
	v_mov_b32_e32 v6, s0
	v_add_co_u32_e32 v4, vcc, s33, v4
	v_addc_co_u32_e32 v5, vcc, v6, v5, vcc
	v_add_co_u32_e32 v6, vcc, v14, v2
	v_addc_co_u32_e32 v3, vcc, v15, v3, vcc
	;; [unrolled: 2-line block ×4, first 2 shown]
	v_readlane_b32 s0, v72, 5
	v_mov_b32_e32 v15, s0
	v_add_co_u32_e32 v14, vcc, s78, v6
	v_addc_co_u32_e32 v15, vcc, v15, v3, vcc
	s_mov_b64 s[2:3], 0
	s_branch .LBB1_115
.LBB1_111:                              ;   in Loop: Header=BB1_115 Depth=2
	s_or_b64 exec, exec, s[0:1]
	v_lshrrev_b64 v[16:17], 20, v[16:17]
	v_cmp_gt_i32_e32 vcc, 16, v6
	v_and_b32_sdwa v3, v3, s84 dst_sel:DWORD dst_unused:UNUSED_PAD src0_sel:BYTE_3 src1_sel:DWORD
	v_min_i32_e32 v18, 15, v6
	v_cndmask_b32_e32 v17, 0, v17, vcc
	v_cndmask_b32_e32 v16, 7, v16, vcc
	v_cmp_eq_u32_e32 vcc, 0, v6
	v_cmp_eq_u64_e64 s[0:1], 0, v[16:17]
	v_lshl_or_b32 v3, v18, 3, v3
	v_and_or_b32 v3, v16, 7, v3
	s_and_b64 s[0:1], vcc, s[0:1]
	v_cndmask_b32_e64 v16, v3, 0, s[0:1]
.LBB1_112:                              ;   in Loop: Header=BB1_115 Depth=2
	s_or_b64 exec, exec, s[8:9]
.LBB1_113:                              ;   in Loop: Header=BB1_115 Depth=2
	s_andn2_saveexec_b64 s[0:1], s[6:7]
	s_or_b64 exec, exec, s[0:1]
.LBB1_114:                              ;   in Loop: Header=BB1_115 Depth=2
	s_andn2_saveexec_b64 s[0:1], s[4:5]
	s_or_b64 exec, exec, s[0:1]
	v_add_co_u32_e32 v4, vcc, 2, v4
	v_add_u32_e32 v2, 1, v2
	v_addc_co_u32_e32 v5, vcc, 0, v5, vcc
	v_cmp_ge_i32_e32 vcc, v2, v38
	global_store_byte v[14:15], v16, off
	s_or_b64 s[2:3], vcc, s[2:3]
	v_add_co_u32_e32 v14, vcc, 1, v14
	v_addc_co_u32_e32 v15, vcc, 0, v15, vcc
	s_andn2_b64 exec, exec, s[2:3]
	s_cbranch_execz .LBB1_122
.LBB1_115:                              ;   Parent Loop BB1_7 Depth=1
                                        ; =>  This Inner Loop Header: Depth=2
	global_load_ushort v3, v[4:5], off
	s_waitcnt vmcnt(0)
	v_lshlrev_b32_e32 v3, 16, v3
	v_div_scale_f32 v6, s[0:1], s42, s42, v3
	v_rcp_f32_e32 v16, v6
	v_div_scale_f32 v17, vcc, v3, s42, v3
	v_fma_f32 v18, -v6, v16, 1.0
	v_fmac_f32_e32 v16, v18, v16
	v_mul_f32_e32 v18, v17, v16
	v_fma_f32 v19, -v6, v18, v17
	v_fmac_f32_e32 v18, v19, v16
	v_fma_f32 v6, -v6, v18, v17
	v_div_fmas_f32 v6, v6, v16, v18
	v_div_fixup_f32 v3, v6, s42, v3
	v_and_b32_e32 v6, 0x7f800000, v3
	v_or_b32_sdwa v16, v3, s85 dst_sel:DWORD dst_unused:UNUSED_PAD src0_sel:BYTE_3 src1_sel:DWORD
	v_cmp_ne_u64_e32 vcc, s[50:51], v[6:7]
	s_and_saveexec_b64 s[0:1], vcc
	s_xor_b64 s[4:5], exec, s[0:1]
	s_cbranch_execz .LBB1_114
; %bb.116:                              ;   in Loop: Header=BB1_115 Depth=2
	v_and_b32_e32 v6, 0x7fffffff, v3
	v_cmp_gt_u64_e32 vcc, s[52:53], v[6:7]
	s_and_saveexec_b64 s[0:1], vcc
	s_xor_b64 s[6:7], exec, s[0:1]
	s_cbranch_execz .LBB1_113
; %bb.117:                              ;   in Loop: Header=BB1_115 Depth=2
	v_cmp_ne_u32_e32 vcc, 0, v3
	v_mov_b32_e32 v16, 0
	s_and_saveexec_b64 s[8:9], vcc
	s_cbranch_execz .LBB1_112
; %bb.118:                              ;   in Loop: Header=BB1_115 Depth=2
	v_bfe_u32 v16, v3, 23, 8
	v_sub_u32_e32 v18, 0x78, v16
	v_cmp_gt_u32_e32 vcc, s76, v16
	v_cndmask_b32_e32 v18, 0, v18, vcc
	v_cmp_eq_u32_e32 vcc, 0, v16
	v_and_b32_e32 v6, 0x7fffff, v3
	v_cndmask_b32_e32 v18, v18, v44, vcc
	v_add_u32_e32 v17, 0xffffff81, v16
	v_or_b32_e32 v19, 0x800000, v6
	v_add_u32_e32 v16, 20, v18
	v_cndmask_b32_e32 v24, v17, v43, vcc
	v_cndmask_b32_e32 v6, v19, v6, vcc
	v_lshlrev_b64 v[16:17], v16, -1
	v_not_b32_e32 v16, v16
	v_lshrrev_b64 v[22:23], v18, v[6:7]
	v_and_b32_e32 v16, v6, v16
	v_add_u32_e32 v19, 19, v18
	v_lshrrev_b32_e32 v6, 23, v22
	v_mov_b32_e32 v17, v7
	v_lshlrev_b64 v[20:21], v19, 1
	v_add3_u32 v19, v18, v24, v6
	v_bfe_u32 v6, v22, 20, 1
	v_add_u32_e32 v6, -1, v6
	v_cmp_eq_u64_e32 vcc, v[16:17], v[20:21]
	v_cndmask_b32_e32 v6, 0, v6, vcc
	v_add_u32_e32 v6, v6, v22
	v_and_b32_e32 v6, 0xfffff, v6
	v_add_co_u32_e32 v16, vcc, v6, v22
	v_add_u32_e32 v18, 7, v19
	v_addc_co_u32_e32 v17, vcc, 0, v23, vcc
	v_cmp_ne_u32_e32 vcc, 0, v18
                                        ; implicit-def: $vgpr6
	s_and_saveexec_b64 s[0:1], vcc
	s_xor_b64 s[0:1], exec, s[0:1]
; %bb.119:                              ;   in Loop: Header=BB1_115 Depth=2
	v_add_u32_e32 v6, 8, v19
	v_cmp_lt_u64_e32 vcc, s[54:55], v[16:17]
	v_cndmask_b32_e32 v6, v18, v6, vcc
	v_cndmask_b32_e64 v18, 0, 1, vcc
	v_lshrrev_b64 v[16:17], v18, v[16:17]
; %bb.120:                              ;   in Loop: Header=BB1_115 Depth=2
	s_andn2_saveexec_b64 s[0:1], s[0:1]
	s_cbranch_execz .LBB1_111
; %bb.121:                              ;   in Loop: Header=BB1_115 Depth=2
	v_bfe_u32 v6, v16, 23, 1
	s_branch .LBB1_111
.LBB1_122:                              ;   in Loop: Header=BB1_7 Depth=1
	s_or_b64 exec, exec, s[58:59]
                                        ; implicit-def: $vgpr18_vgpr19
.LBB1_123:                              ;   in Loop: Header=BB1_7 Depth=1
	s_andn2_saveexec_b64 s[2:3], s[56:57]
	s_cbranch_execz .LBB1_207
; %bb.124:                              ;   in Loop: Header=BB1_7 Depth=1
	s_andn2_b64 vcc, exec, s[64:65]
	s_cbranch_vccnz .LBB1_207
; %bb.125:                              ;   in Loop: Header=BB1_7 Depth=1
	v_add_co_u32_e32 v2, vcc, v13, v36
	v_addc_co_u32_e32 v3, vcc, v45, v37, vcc
	v_readlane_b32 s0, v72, 5
	v_mov_b32_e32 v4, s0
	v_add_co_u32_e32 v14, vcc, s78, v2
	v_addc_co_u32_e32 v15, vcc, v4, v3, vcc
	s_mov_b32 s10, s30
	s_branch .LBB1_130
.LBB1_126:                              ;   in Loop: Header=BB1_130 Depth=2
	s_or_b64 exec, exec, s[0:1]
	v_lshrrev_b64 v[4:5], 20, v[4:5]
	v_cmp_gt_i32_e32 vcc, 16, v6
	v_and_b32_sdwa v3, v3, s84 dst_sel:DWORD dst_unused:UNUSED_PAD src0_sel:BYTE_3 src1_sel:DWORD
	v_min_i32_e32 v17, 15, v6
	v_cndmask_b32_e32 v5, 0, v5, vcc
	v_cndmask_b32_e32 v4, 7, v4, vcc
	v_cmp_eq_u32_e32 vcc, 0, v6
	v_cmp_eq_u64_e64 s[0:1], 0, v[4:5]
	v_lshl_or_b32 v3, v17, 3, v3
	v_and_or_b32 v3, v4, 7, v3
	s_and_b64 s[0:1], vcc, s[0:1]
	v_cndmask_b32_e64 v4, v3, 0, s[0:1]
.LBB1_127:                              ;   in Loop: Header=BB1_130 Depth=2
	s_or_b64 exec, exec, s[8:9]
.LBB1_128:                              ;   in Loop: Header=BB1_130 Depth=2
	s_andn2_saveexec_b64 s[0:1], s[6:7]
	s_or_b64 exec, exec, s[0:1]
.LBB1_129:                              ;   in Loop: Header=BB1_130 Depth=2
	s_andn2_saveexec_b64 s[0:1], s[4:5]
	s_or_b64 exec, exec, s[0:1]
	v_lshlrev_b32_e32 v3, 24, v4
	v_lshlrev_b32_e32 v4, 16, v28
	v_and_b32_e32 v4, 0xff0000, v4
	v_or_b32_e32 v3, v3, v4
	v_lshlrev_b32_e32 v4, 8, v26
	v_and_b32_e32 v4, 0xff00, v4
	v_and_b32_e32 v5, 0xff, v24
	v_or3_b32 v3, v3, v4, v5
	v_lshlrev_b32_e32 v4, 16, v22
	v_lshlrev_b32_e32 v5, 8, v20
	v_perm_b32 v2, v2, v4, s81
	v_and_or_b32 v2, v5, s74, v2
	v_or_b32_sdwa v2, v2, v16 dst_sel:DWORD dst_unused:UNUSED_PAD src0_sel:DWORD src1_sel:BYTE_0
	global_store_dwordx2 v[14:15], v[2:3], off
	v_add_co_u32_e32 v14, vcc, 8, v14
	v_addc_co_u32_e32 v15, vcc, 0, v15, vcc
	s_add_i32 s10, s10, -1
	v_add_co_u32_e32 v18, vcc, 16, v18
	s_cmp_eq_u32 s10, 0
	v_addc_co_u32_e32 v19, vcc, 0, v19, vcc
	s_cbranch_scc1 .LBB1_207
.LBB1_130:                              ;   Parent Loop BB1_7 Depth=1
                                        ; =>  This Inner Loop Header: Depth=2
	global_load_dwordx4 v[2:5], v[18:19], off
	s_waitcnt vmcnt(0)
	v_lshlrev_b32_e32 v6, 16, v2
	v_div_scale_f32 v16, s[0:1], s42, s42, v6
	v_rcp_f32_e32 v17, v16
	v_div_scale_f32 v20, vcc, v6, s42, v6
	v_fma_f32 v21, -v16, v17, 1.0
	v_fmac_f32_e32 v17, v21, v17
	v_mul_f32_e32 v21, v20, v17
	v_fma_f32 v22, -v16, v21, v20
	v_fmac_f32_e32 v21, v22, v17
	v_fma_f32 v16, -v16, v21, v20
	v_div_fmas_f32 v16, v16, v17, v21
	v_div_fixup_f32 v20, v16, s42, v6
	v_and_b32_e32 v6, 0x7f800000, v20
	v_or_b32_sdwa v16, v20, s85 dst_sel:DWORD dst_unused:UNUSED_PAD src0_sel:BYTE_3 src1_sel:DWORD
	v_cmp_ne_u64_e32 vcc, s[50:51], v[6:7]
	s_and_saveexec_b64 s[0:1], vcc
	s_xor_b64 s[4:5], exec, s[0:1]
	s_cbranch_execz .LBB1_140
; %bb.131:                              ;   in Loop: Header=BB1_130 Depth=2
	v_and_b32_e32 v6, 0x7fffffff, v20
	v_cmp_gt_u64_e32 vcc, s[52:53], v[6:7]
	s_and_saveexec_b64 s[0:1], vcc
	s_xor_b64 s[6:7], exec, s[0:1]
	s_cbranch_execz .LBB1_139
; %bb.132:                              ;   in Loop: Header=BB1_130 Depth=2
	v_cmp_ne_u32_e32 vcc, 0, v20
	v_pk_mov_b32 v[16:17], 0, 0
	s_and_saveexec_b64 s[8:9], vcc
	s_cbranch_execz .LBB1_138
; %bb.133:                              ;   in Loop: Header=BB1_130 Depth=2
	v_bfe_u32 v16, v20, 23, 8
	v_sub_u32_e32 v21, 0x78, v16
	v_cmp_gt_u32_e32 vcc, s76, v16
	v_cndmask_b32_e32 v21, 0, v21, vcc
	v_cmp_eq_u32_e32 vcc, 0, v16
	v_and_b32_e32 v6, 0x7fffff, v20
	v_cndmask_b32_e32 v21, v21, v44, vcc
	v_add_u32_e32 v17, 0xffffff81, v16
	v_or_b32_e32 v22, 0x800000, v6
	v_add_u32_e32 v16, 20, v21
	v_cndmask_b32_e32 v23, v17, v43, vcc
	v_cndmask_b32_e32 v6, v22, v6, vcc
	v_lshlrev_b64 v[16:17], v16, -1
	v_not_b32_e32 v16, v16
	v_lshrrev_b64 v[26:27], v21, v[6:7]
	v_and_b32_e32 v16, v6, v16
	v_add_u32_e32 v22, 19, v21
	v_lshrrev_b32_e32 v6, 23, v26
	v_mov_b32_e32 v17, v7
	v_lshlrev_b64 v[24:25], v22, 1
	v_add3_u32 v22, v21, v23, v6
	v_bfe_u32 v6, v26, 20, 1
	v_add_u32_e32 v6, -1, v6
	v_cmp_eq_u64_e32 vcc, v[16:17], v[24:25]
	v_cndmask_b32_e32 v6, 0, v6, vcc
	v_add_u32_e32 v6, v6, v26
	v_and_b32_e32 v6, 0xfffff, v6
	v_add_co_u32_e32 v16, vcc, v6, v26
	v_add_u32_e32 v21, 7, v22
	v_addc_co_u32_e32 v17, vcc, 0, v27, vcc
	v_cmp_ne_u32_e32 vcc, 0, v21
                                        ; implicit-def: $vgpr6
	s_and_saveexec_b64 s[0:1], vcc
	s_xor_b64 s[0:1], exec, s[0:1]
; %bb.134:                              ;   in Loop: Header=BB1_130 Depth=2
	v_add_u32_e32 v6, 8, v22
	v_cmp_lt_u64_e32 vcc, s[54:55], v[16:17]
	v_cndmask_b32_e32 v6, v21, v6, vcc
	v_cndmask_b32_e64 v21, 0, 1, vcc
	v_lshrrev_b64 v[16:17], v21, v[16:17]
; %bb.135:                              ;   in Loop: Header=BB1_130 Depth=2
	s_andn2_saveexec_b64 s[0:1], s[0:1]
; %bb.136:                              ;   in Loop: Header=BB1_130 Depth=2
	v_bfe_u32 v6, v16, 23, 1
; %bb.137:                              ;   in Loop: Header=BB1_130 Depth=2
	s_or_b64 exec, exec, s[0:1]
	v_lshrrev_b64 v[16:17], 20, v[16:17]
	v_cmp_gt_i32_e32 vcc, 16, v6
	v_and_b32_sdwa v20, v20, s84 dst_sel:DWORD dst_unused:UNUSED_PAD src0_sel:BYTE_3 src1_sel:DWORD
	v_min_i32_e32 v21, 15, v6
	v_cndmask_b32_e32 v17, 0, v17, vcc
	v_cndmask_b32_e32 v16, 7, v16, vcc
	v_cmp_eq_u32_e32 vcc, 0, v6
	v_cmp_eq_u64_e64 s[0:1], 0, v[16:17]
	v_lshl_or_b32 v6, v21, 3, v20
	v_and_or_b32 v6, v16, 7, v6
	s_and_b64 s[0:1], vcc, s[0:1]
	v_cndmask_b32_e64 v16, v6, 0, s[0:1]
.LBB1_138:                              ;   in Loop: Header=BB1_130 Depth=2
	s_or_b64 exec, exec, s[8:9]
.LBB1_139:                              ;   in Loop: Header=BB1_130 Depth=2
	s_andn2_saveexec_b64 s[0:1], s[6:7]
	s_or_b64 exec, exec, s[0:1]
.LBB1_140:                              ;   in Loop: Header=BB1_130 Depth=2
	s_andn2_saveexec_b64 s[0:1], s[4:5]
	s_or_b64 exec, exec, s[0:1]
	v_and_b32_e32 v2, 0xffff0000, v2
	v_div_scale_f32 v6, s[0:1], s42, s42, v2
	v_rcp_f32_e32 v17, v6
	v_div_scale_f32 v20, vcc, v2, s42, v2
	v_fma_f32 v21, -v6, v17, 1.0
	v_fmac_f32_e32 v17, v21, v17
	v_mul_f32_e32 v21, v20, v17
	v_fma_f32 v22, -v6, v21, v20
	v_fmac_f32_e32 v21, v22, v17
	v_fma_f32 v6, -v6, v21, v20
	v_div_fmas_f32 v6, v6, v17, v21
	v_div_fixup_f32 v2, v6, s42, v2
	v_and_b32_e32 v6, 0x7f800000, v2
	v_or_b32_sdwa v20, v2, s85 dst_sel:DWORD dst_unused:UNUSED_PAD src0_sel:BYTE_3 src1_sel:DWORD
	v_cmp_ne_u64_e32 vcc, s[50:51], v[6:7]
	s_and_saveexec_b64 s[0:1], vcc
	s_xor_b64 s[4:5], exec, s[0:1]
	s_cbranch_execz .LBB1_150
; %bb.141:                              ;   in Loop: Header=BB1_130 Depth=2
	v_and_b32_e32 v6, 0x7fffffff, v2
	v_cmp_gt_u64_e32 vcc, s[52:53], v[6:7]
	s_and_saveexec_b64 s[0:1], vcc
	s_xor_b64 s[6:7], exec, s[0:1]
	s_cbranch_execz .LBB1_149
; %bb.142:                              ;   in Loop: Header=BB1_130 Depth=2
	v_cmp_ne_u32_e32 vcc, 0, v2
	v_pk_mov_b32 v[20:21], 0, 0
	s_and_saveexec_b64 s[8:9], vcc
	s_cbranch_execz .LBB1_148
; %bb.143:                              ;   in Loop: Header=BB1_130 Depth=2
	v_bfe_u32 v17, v2, 23, 8
	v_sub_u32_e32 v21, 0x78, v17
	v_cmp_gt_u32_e32 vcc, s76, v17
	v_cndmask_b32_e32 v21, 0, v21, vcc
	v_cmp_eq_u32_e32 vcc, 0, v17
	v_and_b32_e32 v6, 0x7fffff, v2
	v_add_u32_e32 v20, 0xffffff81, v17
	v_cndmask_b32_e32 v23, v21, v44, vcc
	v_or_b32_e32 v22, 0x800000, v6
	v_cndmask_b32_e32 v17, v20, v43, vcc
	v_add_u32_e32 v20, 20, v23
	v_cndmask_b32_e32 v6, v22, v6, vcc
	v_lshlrev_b64 v[20:21], v20, -1
	v_not_b32_e32 v20, v20
	v_lshrrev_b64 v[26:27], v23, v[6:7]
	v_and_b32_e32 v20, v6, v20
	v_add_u32_e32 v22, 19, v23
	v_lshrrev_b32_e32 v6, 23, v26
	v_mov_b32_e32 v21, v7
	v_lshlrev_b64 v[24:25], v22, 1
	v_add3_u32 v22, v23, v17, v6
	v_bfe_u32 v6, v26, 20, 1
	v_add_u32_e32 v6, -1, v6
	v_cmp_eq_u64_e32 vcc, v[20:21], v[24:25]
	v_cndmask_b32_e32 v6, 0, v6, vcc
	v_add_u32_e32 v6, v6, v26
	v_and_b32_e32 v6, 0xfffff, v6
	v_add_co_u32_e32 v20, vcc, v6, v26
	v_add_u32_e32 v17, 7, v22
	v_addc_co_u32_e32 v21, vcc, 0, v27, vcc
	v_cmp_ne_u32_e32 vcc, 0, v17
                                        ; implicit-def: $vgpr6
	s_and_saveexec_b64 s[0:1], vcc
	s_xor_b64 s[0:1], exec, s[0:1]
; %bb.144:                              ;   in Loop: Header=BB1_130 Depth=2
	v_add_u32_e32 v6, 8, v22
	v_cmp_lt_u64_e32 vcc, s[54:55], v[20:21]
	v_cndmask_b32_e32 v6, v17, v6, vcc
	v_cndmask_b32_e64 v17, 0, 1, vcc
	v_lshrrev_b64 v[20:21], v17, v[20:21]
; %bb.145:                              ;   in Loop: Header=BB1_130 Depth=2
	s_andn2_saveexec_b64 s[0:1], s[0:1]
; %bb.146:                              ;   in Loop: Header=BB1_130 Depth=2
	v_bfe_u32 v6, v20, 23, 1
; %bb.147:                              ;   in Loop: Header=BB1_130 Depth=2
	s_or_b64 exec, exec, s[0:1]
	v_lshrrev_b64 v[20:21], 20, v[20:21]
	v_cmp_gt_i32_e32 vcc, 16, v6
	v_and_b32_sdwa v2, v2, s84 dst_sel:DWORD dst_unused:UNUSED_PAD src0_sel:BYTE_3 src1_sel:DWORD
	v_min_i32_e32 v17, 15, v6
	v_cndmask_b32_e32 v21, 0, v21, vcc
	v_cndmask_b32_e32 v20, 7, v20, vcc
	v_cmp_eq_u32_e32 vcc, 0, v6
	v_cmp_eq_u64_e64 s[0:1], 0, v[20:21]
	v_lshl_or_b32 v2, v17, 3, v2
	v_and_or_b32 v2, v20, 7, v2
	s_and_b64 s[0:1], vcc, s[0:1]
	v_cndmask_b32_e64 v20, v2, 0, s[0:1]
.LBB1_148:                              ;   in Loop: Header=BB1_130 Depth=2
	s_or_b64 exec, exec, s[8:9]
.LBB1_149:                              ;   in Loop: Header=BB1_130 Depth=2
	s_andn2_saveexec_b64 s[0:1], s[6:7]
	s_or_b64 exec, exec, s[0:1]
.LBB1_150:                              ;   in Loop: Header=BB1_130 Depth=2
	s_andn2_saveexec_b64 s[0:1], s[4:5]
	s_or_b64 exec, exec, s[0:1]
	v_lshlrev_b32_e32 v2, 16, v3
	v_div_scale_f32 v6, s[0:1], s42, s42, v2
	v_rcp_f32_e32 v17, v6
	v_div_scale_f32 v21, vcc, v2, s42, v2
	v_fma_f32 v22, -v6, v17, 1.0
	v_fmac_f32_e32 v17, v22, v17
	v_mul_f32_e32 v22, v21, v17
	v_fma_f32 v23, -v6, v22, v21
	v_fmac_f32_e32 v22, v23, v17
	v_fma_f32 v6, -v6, v22, v21
	v_div_fmas_f32 v6, v6, v17, v22
	v_div_fixup_f32 v2, v6, s42, v2
	v_and_b32_e32 v6, 0x7f800000, v2
	v_or_b32_sdwa v22, v2, s85 dst_sel:DWORD dst_unused:UNUSED_PAD src0_sel:BYTE_3 src1_sel:DWORD
	v_cmp_ne_u64_e32 vcc, s[50:51], v[6:7]
	s_and_saveexec_b64 s[0:1], vcc
	s_xor_b64 s[4:5], exec, s[0:1]
	s_cbranch_execz .LBB1_160
; %bb.151:                              ;   in Loop: Header=BB1_130 Depth=2
	v_and_b32_e32 v6, 0x7fffffff, v2
	v_cmp_gt_u64_e32 vcc, s[52:53], v[6:7]
	s_and_saveexec_b64 s[0:1], vcc
	s_xor_b64 s[6:7], exec, s[0:1]
	s_cbranch_execz .LBB1_159
; %bb.152:                              ;   in Loop: Header=BB1_130 Depth=2
	v_cmp_ne_u32_e32 vcc, 0, v2
	v_pk_mov_b32 v[22:23], 0, 0
	s_and_saveexec_b64 s[8:9], vcc
	s_cbranch_execz .LBB1_158
; %bb.153:                              ;   in Loop: Header=BB1_130 Depth=2
	v_bfe_u32 v17, v2, 23, 8
	v_sub_u32_e32 v22, 0x78, v17
	v_cmp_gt_u32_e32 vcc, s76, v17
	v_add_u32_e32 v21, 0xffffff81, v17
	v_cndmask_b32_e32 v22, 0, v22, vcc
	v_cmp_eq_u32_e32 vcc, 0, v17
	v_and_b32_e32 v6, 0x7fffff, v2
	v_cndmask_b32_e32 v17, v21, v43, vcc
	v_cndmask_b32_e32 v21, v22, v44, vcc
	v_or_b32_e32 v23, 0x800000, v6
	v_add_u32_e32 v22, 20, v21
	v_cndmask_b32_e32 v6, v23, v6, vcc
	v_lshlrev_b64 v[22:23], v22, -1
	v_not_b32_e32 v22, v22
	v_lshrrev_b64 v[26:27], v21, v[6:7]
	v_and_b32_e32 v22, v6, v22
	v_add_u32_e32 v24, 19, v21
	v_lshrrev_b32_e32 v6, 23, v26
	v_mov_b32_e32 v23, v7
	v_lshlrev_b64 v[24:25], v24, 1
	v_add3_u32 v21, v21, v17, v6
	v_bfe_u32 v6, v26, 20, 1
	v_add_u32_e32 v6, -1, v6
	v_cmp_eq_u64_e32 vcc, v[22:23], v[24:25]
	v_cndmask_b32_e32 v6, 0, v6, vcc
	v_add_u32_e32 v6, v6, v26
	v_and_b32_e32 v6, 0xfffff, v6
	v_add_co_u32_e32 v22, vcc, v6, v26
	v_add_u32_e32 v17, 7, v21
	v_addc_co_u32_e32 v23, vcc, 0, v27, vcc
	v_cmp_ne_u32_e32 vcc, 0, v17
                                        ; implicit-def: $vgpr6
	s_and_saveexec_b64 s[0:1], vcc
	s_xor_b64 s[0:1], exec, s[0:1]
; %bb.154:                              ;   in Loop: Header=BB1_130 Depth=2
	v_add_u32_e32 v6, 8, v21
	v_cmp_lt_u64_e32 vcc, s[54:55], v[22:23]
	v_cndmask_b32_e32 v6, v17, v6, vcc
	v_cndmask_b32_e64 v17, 0, 1, vcc
	v_lshrrev_b64 v[22:23], v17, v[22:23]
; %bb.155:                              ;   in Loop: Header=BB1_130 Depth=2
	s_andn2_saveexec_b64 s[0:1], s[0:1]
; %bb.156:                              ;   in Loop: Header=BB1_130 Depth=2
	v_bfe_u32 v6, v22, 23, 1
; %bb.157:                              ;   in Loop: Header=BB1_130 Depth=2
	s_or_b64 exec, exec, s[0:1]
	v_lshrrev_b64 v[22:23], 20, v[22:23]
	v_cmp_gt_i32_e32 vcc, 16, v6
	v_and_b32_sdwa v2, v2, s84 dst_sel:DWORD dst_unused:UNUSED_PAD src0_sel:BYTE_3 src1_sel:DWORD
	v_min_i32_e32 v17, 15, v6
	v_cndmask_b32_e32 v23, 0, v23, vcc
	v_cndmask_b32_e32 v22, 7, v22, vcc
	v_cmp_eq_u32_e32 vcc, 0, v6
	v_cmp_eq_u64_e64 s[0:1], 0, v[22:23]
	v_lshl_or_b32 v2, v17, 3, v2
	v_and_or_b32 v2, v22, 7, v2
	s_and_b64 s[0:1], vcc, s[0:1]
	v_cndmask_b32_e64 v22, v2, 0, s[0:1]
.LBB1_158:                              ;   in Loop: Header=BB1_130 Depth=2
	s_or_b64 exec, exec, s[8:9]
.LBB1_159:                              ;   in Loop: Header=BB1_130 Depth=2
	s_andn2_saveexec_b64 s[0:1], s[6:7]
	s_or_b64 exec, exec, s[0:1]
.LBB1_160:                              ;   in Loop: Header=BB1_130 Depth=2
	s_andn2_saveexec_b64 s[0:1], s[4:5]
	s_or_b64 exec, exec, s[0:1]
	v_and_b32_e32 v2, 0xffff0000, v3
	v_div_scale_f32 v3, s[0:1], s42, s42, v2
	v_rcp_f32_e32 v6, v3
	v_div_scale_f32 v17, vcc, v2, s42, v2
	v_fma_f32 v21, -v3, v6, 1.0
	v_fmac_f32_e32 v6, v21, v6
	v_mul_f32_e32 v21, v17, v6
	v_fma_f32 v23, -v3, v21, v17
	v_fmac_f32_e32 v21, v23, v6
	v_fma_f32 v3, -v3, v21, v17
	v_div_fmas_f32 v3, v3, v6, v21
	v_div_fixup_f32 v17, v3, s42, v2
	v_and_b32_e32 v6, 0x7f800000, v17
	v_or_b32_sdwa v2, v17, s85 dst_sel:DWORD dst_unused:UNUSED_PAD src0_sel:BYTE_3 src1_sel:DWORD
	v_cmp_ne_u64_e32 vcc, s[50:51], v[6:7]
	s_and_saveexec_b64 s[0:1], vcc
	s_xor_b64 s[4:5], exec, s[0:1]
	s_cbranch_execz .LBB1_170
; %bb.161:                              ;   in Loop: Header=BB1_130 Depth=2
	v_and_b32_e32 v6, 0x7fffffff, v17
	v_cmp_gt_u64_e32 vcc, s[52:53], v[6:7]
	s_and_saveexec_b64 s[0:1], vcc
	s_xor_b64 s[6:7], exec, s[0:1]
	s_cbranch_execz .LBB1_169
; %bb.162:                              ;   in Loop: Header=BB1_130 Depth=2
	v_cmp_ne_u32_e32 vcc, 0, v17
	v_pk_mov_b32 v[2:3], 0, 0
	s_and_saveexec_b64 s[8:9], vcc
	s_cbranch_execz .LBB1_168
; %bb.163:                              ;   in Loop: Header=BB1_130 Depth=2
	v_bfe_u32 v3, v17, 23, 8
	v_sub_u32_e32 v21, 0x78, v3
	v_cmp_gt_u32_e32 vcc, s76, v3
	v_and_b32_e32 v2, 0x7fffff, v17
	v_cndmask_b32_e32 v21, 0, v21, vcc
	v_cmp_eq_u32_e32 vcc, 0, v3
	v_add_u32_e32 v6, 0xffffff81, v3
	v_or_b32_e32 v23, 0x800000, v2
	v_cndmask_b32_e32 v21, v21, v44, vcc
	v_cndmask_b32_e32 v28, v6, v43, vcc
	v_cndmask_b32_e32 v6, v23, v2, vcc
	v_add_u32_e32 v2, 20, v21
	v_lshlrev_b64 v[2:3], v2, -1
	v_not_b32_e32 v2, v2
	v_lshrrev_b64 v[26:27], v21, v[6:7]
	v_and_b32_e32 v2, v6, v2
	v_add_u32_e32 v23, 19, v21
	v_lshrrev_b32_e32 v6, 23, v26
	v_mov_b32_e32 v3, v7
	v_lshlrev_b64 v[24:25], v23, 1
	v_add3_u32 v23, v21, v28, v6
	v_bfe_u32 v6, v26, 20, 1
	v_add_u32_e32 v6, -1, v6
	v_cmp_eq_u64_e32 vcc, v[2:3], v[24:25]
	v_cndmask_b32_e32 v2, 0, v6, vcc
	v_add_u32_e32 v2, v2, v26
	v_and_b32_e32 v2, 0xfffff, v2
	v_add_co_u32_e32 v2, vcc, v2, v26
	v_add_u32_e32 v21, 7, v23
	v_addc_co_u32_e32 v3, vcc, 0, v27, vcc
	v_cmp_ne_u32_e32 vcc, 0, v21
                                        ; implicit-def: $vgpr6
	s_and_saveexec_b64 s[0:1], vcc
	s_xor_b64 s[0:1], exec, s[0:1]
; %bb.164:                              ;   in Loop: Header=BB1_130 Depth=2
	v_add_u32_e32 v6, 8, v23
	v_cmp_lt_u64_e32 vcc, s[54:55], v[2:3]
	v_cndmask_b32_e32 v6, v21, v6, vcc
	v_cndmask_b32_e64 v21, 0, 1, vcc
	v_lshrrev_b64 v[2:3], v21, v[2:3]
; %bb.165:                              ;   in Loop: Header=BB1_130 Depth=2
	s_andn2_saveexec_b64 s[0:1], s[0:1]
; %bb.166:                              ;   in Loop: Header=BB1_130 Depth=2
	v_bfe_u32 v6, v2, 23, 1
; %bb.167:                              ;   in Loop: Header=BB1_130 Depth=2
	s_or_b64 exec, exec, s[0:1]
	v_lshrrev_b64 v[2:3], 20, v[2:3]
	v_cmp_gt_i32_e32 vcc, 16, v6
	v_and_b32_sdwa v17, v17, s84 dst_sel:DWORD dst_unused:UNUSED_PAD src0_sel:BYTE_3 src1_sel:DWORD
	v_min_i32_e32 v21, 15, v6
	v_cndmask_b32_e32 v3, 0, v3, vcc
	v_cndmask_b32_e32 v2, 7, v2, vcc
	v_cmp_eq_u32_e32 vcc, 0, v6
	v_cmp_eq_u64_e64 s[0:1], 0, v[2:3]
	v_lshl_or_b32 v3, v21, 3, v17
	v_and_or_b32 v2, v2, 7, v3
	s_and_b64 s[0:1], vcc, s[0:1]
	v_cndmask_b32_e64 v2, v2, 0, s[0:1]
.LBB1_168:                              ;   in Loop: Header=BB1_130 Depth=2
	s_or_b64 exec, exec, s[8:9]
.LBB1_169:                              ;   in Loop: Header=BB1_130 Depth=2
	s_andn2_saveexec_b64 s[0:1], s[6:7]
	s_or_b64 exec, exec, s[0:1]
.LBB1_170:                              ;   in Loop: Header=BB1_130 Depth=2
	s_andn2_saveexec_b64 s[0:1], s[4:5]
	s_or_b64 exec, exec, s[0:1]
	v_lshlrev_b32_e32 v3, 16, v4
	v_div_scale_f32 v6, s[0:1], s42, s42, v3
	v_rcp_f32_e32 v17, v6
	v_div_scale_f32 v21, vcc, v3, s42, v3
	v_fma_f32 v23, -v6, v17, 1.0
	v_fmac_f32_e32 v17, v23, v17
	v_mul_f32_e32 v23, v21, v17
	v_fma_f32 v24, -v6, v23, v21
	v_fmac_f32_e32 v23, v24, v17
	v_fma_f32 v6, -v6, v23, v21
	v_div_fmas_f32 v6, v6, v17, v23
	v_div_fixup_f32 v3, v6, s42, v3
	v_and_b32_e32 v6, 0x7f800000, v3
	v_or_b32_sdwa v24, v3, s85 dst_sel:DWORD dst_unused:UNUSED_PAD src0_sel:BYTE_3 src1_sel:DWORD
	v_cmp_ne_u64_e32 vcc, s[50:51], v[6:7]
	s_and_saveexec_b64 s[0:1], vcc
	s_xor_b64 s[4:5], exec, s[0:1]
	s_cbranch_execz .LBB1_180
; %bb.171:                              ;   in Loop: Header=BB1_130 Depth=2
	v_and_b32_e32 v6, 0x7fffffff, v3
	v_cmp_gt_u64_e32 vcc, s[52:53], v[6:7]
	s_and_saveexec_b64 s[0:1], vcc
	s_xor_b64 s[6:7], exec, s[0:1]
	s_cbranch_execz .LBB1_179
; %bb.172:                              ;   in Loop: Header=BB1_130 Depth=2
	v_cmp_ne_u32_e32 vcc, 0, v3
	v_pk_mov_b32 v[24:25], 0, 0
	s_and_saveexec_b64 s[8:9], vcc
	s_cbranch_execz .LBB1_178
; %bb.173:                              ;   in Loop: Header=BB1_130 Depth=2
	v_bfe_u32 v17, v3, 23, 8
	v_sub_u32_e32 v23, 0x78, v17
	v_cmp_gt_u32_e32 vcc, s76, v17
	v_add_u32_e32 v21, 0xffffff81, v17
	v_cndmask_b32_e32 v23, 0, v23, vcc
	v_cmp_eq_u32_e32 vcc, 0, v17
	v_and_b32_e32 v6, 0x7fffff, v3
	v_cndmask_b32_e32 v17, v21, v43, vcc
	v_cndmask_b32_e32 v21, v23, v44, vcc
	v_or_b32_e32 v24, 0x800000, v6
	v_add_u32_e32 v23, 20, v21
	v_cndmask_b32_e32 v6, v24, v6, vcc
	v_lshlrev_b64 v[24:25], v23, -1
	v_not_b32_e32 v23, v24
	v_lshrrev_b64 v[28:29], v21, v[6:7]
	v_and_b32_e32 v24, v6, v23
	v_add_u32_e32 v23, 19, v21
	v_lshrrev_b32_e32 v6, 23, v28
	v_mov_b32_e32 v25, v7
	v_lshlrev_b64 v[26:27], v23, 1
	v_add3_u32 v21, v21, v17, v6
	v_bfe_u32 v6, v28, 20, 1
	v_add_u32_e32 v6, -1, v6
	v_cmp_eq_u64_e32 vcc, v[24:25], v[26:27]
	v_cndmask_b32_e32 v6, 0, v6, vcc
	v_add_u32_e32 v6, v6, v28
	v_and_b32_e32 v6, 0xfffff, v6
	v_add_co_u32_e32 v24, vcc, v6, v28
	v_add_u32_e32 v17, 7, v21
	v_addc_co_u32_e32 v25, vcc, 0, v29, vcc
	v_cmp_ne_u32_e32 vcc, 0, v17
                                        ; implicit-def: $vgpr6
	s_and_saveexec_b64 s[0:1], vcc
	s_xor_b64 s[0:1], exec, s[0:1]
; %bb.174:                              ;   in Loop: Header=BB1_130 Depth=2
	v_add_u32_e32 v6, 8, v21
	v_cmp_lt_u64_e32 vcc, s[54:55], v[24:25]
	v_cndmask_b32_e32 v6, v17, v6, vcc
	v_cndmask_b32_e64 v17, 0, 1, vcc
	v_lshrrev_b64 v[24:25], v17, v[24:25]
; %bb.175:                              ;   in Loop: Header=BB1_130 Depth=2
	s_andn2_saveexec_b64 s[0:1], s[0:1]
; %bb.176:                              ;   in Loop: Header=BB1_130 Depth=2
	v_bfe_u32 v6, v24, 23, 1
; %bb.177:                              ;   in Loop: Header=BB1_130 Depth=2
	s_or_b64 exec, exec, s[0:1]
	v_lshrrev_b64 v[24:25], 20, v[24:25]
	v_cmp_gt_i32_e32 vcc, 16, v6
	v_and_b32_sdwa v3, v3, s84 dst_sel:DWORD dst_unused:UNUSED_PAD src0_sel:BYTE_3 src1_sel:DWORD
	v_min_i32_e32 v17, 15, v6
	v_cndmask_b32_e32 v25, 0, v25, vcc
	v_cndmask_b32_e32 v24, 7, v24, vcc
	v_cmp_eq_u32_e32 vcc, 0, v6
	v_cmp_eq_u64_e64 s[0:1], 0, v[24:25]
	v_lshl_or_b32 v3, v17, 3, v3
	v_and_or_b32 v3, v24, 7, v3
	s_and_b64 s[0:1], vcc, s[0:1]
	v_cndmask_b32_e64 v24, v3, 0, s[0:1]
.LBB1_178:                              ;   in Loop: Header=BB1_130 Depth=2
	s_or_b64 exec, exec, s[8:9]
.LBB1_179:                              ;   in Loop: Header=BB1_130 Depth=2
	s_andn2_saveexec_b64 s[0:1], s[6:7]
	s_or_b64 exec, exec, s[0:1]
.LBB1_180:                              ;   in Loop: Header=BB1_130 Depth=2
	s_andn2_saveexec_b64 s[0:1], s[4:5]
	s_or_b64 exec, exec, s[0:1]
	v_and_b32_e32 v3, 0xffff0000, v4
	v_div_scale_f32 v4, s[0:1], s42, s42, v3
	v_rcp_f32_e32 v6, v4
	v_div_scale_f32 v17, vcc, v3, s42, v3
	v_fma_f32 v21, -v4, v6, 1.0
	v_fmac_f32_e32 v6, v21, v6
	v_mul_f32_e32 v21, v17, v6
	v_fma_f32 v23, -v4, v21, v17
	v_fmac_f32_e32 v21, v23, v6
	v_fma_f32 v4, -v4, v21, v17
	v_div_fmas_f32 v4, v4, v6, v21
	v_div_fixup_f32 v3, v4, s42, v3
	v_and_b32_e32 v6, 0x7f800000, v3
	v_or_b32_sdwa v26, v3, s85 dst_sel:DWORD dst_unused:UNUSED_PAD src0_sel:BYTE_3 src1_sel:DWORD
	v_cmp_ne_u64_e32 vcc, s[50:51], v[6:7]
	s_and_saveexec_b64 s[0:1], vcc
	s_xor_b64 s[4:5], exec, s[0:1]
	s_cbranch_execz .LBB1_190
; %bb.181:                              ;   in Loop: Header=BB1_130 Depth=2
	v_and_b32_e32 v6, 0x7fffffff, v3
	v_cmp_gt_u64_e32 vcc, s[52:53], v[6:7]
	s_and_saveexec_b64 s[0:1], vcc
	s_xor_b64 s[6:7], exec, s[0:1]
	s_cbranch_execz .LBB1_189
; %bb.182:                              ;   in Loop: Header=BB1_130 Depth=2
	v_cmp_ne_u32_e32 vcc, 0, v3
	v_pk_mov_b32 v[26:27], 0, 0
	s_and_saveexec_b64 s[8:9], vcc
	s_cbranch_execz .LBB1_188
; %bb.183:                              ;   in Loop: Header=BB1_130 Depth=2
	v_bfe_u32 v6, v3, 23, 8
	v_sub_u32_e32 v21, 0x78, v6
	v_cmp_gt_u32_e32 vcc, s76, v6
	v_and_b32_e32 v4, 0x7fffff, v3
	v_cndmask_b32_e32 v21, 0, v21, vcc
	v_cmp_eq_u32_e32 vcc, 0, v6
	v_or_b32_e32 v23, 0x800000, v4
	v_cndmask_b32_e32 v21, v21, v44, vcc
	v_add_u32_e32 v17, 0xffffff81, v6
	v_cndmask_b32_e32 v6, v23, v4, vcc
	v_add_u32_e32 v4, 20, v21
	v_lshlrev_b64 v[26:27], v4, -1
	v_not_b32_e32 v4, v26
	v_and_b32_e32 v26, v6, v4
	v_add_u32_e32 v4, 19, v21
	v_lshrrev_b64 v[30:31], v21, v[6:7]
	v_cndmask_b32_e32 v17, v17, v43, vcc
	v_lshlrev_b64 v[28:29], v4, 1
	v_lshrrev_b32_e32 v4, 23, v30
	v_mov_b32_e32 v27, v7
	v_add3_u32 v17, v21, v17, v4
	v_bfe_u32 v4, v30, 20, 1
	v_add_u32_e32 v4, -1, v4
	v_cmp_eq_u64_e32 vcc, v[26:27], v[28:29]
	v_cndmask_b32_e32 v4, 0, v4, vcc
	v_add_u32_e32 v4, v4, v30
	v_and_b32_e32 v4, 0xfffff, v4
	v_add_co_u32_e32 v26, vcc, v4, v30
	v_add_u32_e32 v6, 7, v17
	v_addc_co_u32_e32 v27, vcc, 0, v31, vcc
	v_cmp_ne_u32_e32 vcc, 0, v6
                                        ; implicit-def: $vgpr4
	s_and_saveexec_b64 s[0:1], vcc
	s_xor_b64 s[0:1], exec, s[0:1]
; %bb.184:                              ;   in Loop: Header=BB1_130 Depth=2
	v_add_u32_e32 v4, 8, v17
	v_cmp_lt_u64_e32 vcc, s[54:55], v[26:27]
	v_cndmask_b32_e32 v4, v6, v4, vcc
	v_cndmask_b32_e64 v6, 0, 1, vcc
	v_lshrrev_b64 v[26:27], v6, v[26:27]
; %bb.185:                              ;   in Loop: Header=BB1_130 Depth=2
	s_andn2_saveexec_b64 s[0:1], s[0:1]
; %bb.186:                              ;   in Loop: Header=BB1_130 Depth=2
	v_bfe_u32 v4, v26, 23, 1
; %bb.187:                              ;   in Loop: Header=BB1_130 Depth=2
	s_or_b64 exec, exec, s[0:1]
	v_lshrrev_b64 v[26:27], 20, v[26:27]
	v_cmp_gt_i32_e32 vcc, 16, v4
	v_and_b32_sdwa v3, v3, s84 dst_sel:DWORD dst_unused:UNUSED_PAD src0_sel:BYTE_3 src1_sel:DWORD
	v_min_i32_e32 v6, 15, v4
	v_cndmask_b32_e32 v27, 0, v27, vcc
	v_cndmask_b32_e32 v26, 7, v26, vcc
	v_cmp_eq_u32_e32 vcc, 0, v4
	v_cmp_eq_u64_e64 s[0:1], 0, v[26:27]
	v_lshl_or_b32 v3, v6, 3, v3
	v_and_or_b32 v3, v26, 7, v3
	s_and_b64 s[0:1], vcc, s[0:1]
	v_cndmask_b32_e64 v26, v3, 0, s[0:1]
.LBB1_188:                              ;   in Loop: Header=BB1_130 Depth=2
	s_or_b64 exec, exec, s[8:9]
.LBB1_189:                              ;   in Loop: Header=BB1_130 Depth=2
	s_andn2_saveexec_b64 s[0:1], s[6:7]
	s_or_b64 exec, exec, s[0:1]
.LBB1_190:                              ;   in Loop: Header=BB1_130 Depth=2
	s_andn2_saveexec_b64 s[0:1], s[4:5]
	s_or_b64 exec, exec, s[0:1]
	v_lshlrev_b32_e32 v3, 16, v5
	v_div_scale_f32 v4, s[0:1], s42, s42, v3
	v_rcp_f32_e32 v6, v4
	v_div_scale_f32 v17, vcc, v3, s42, v3
	v_fma_f32 v21, -v4, v6, 1.0
	v_fmac_f32_e32 v6, v21, v6
	v_mul_f32_e32 v21, v17, v6
	v_fma_f32 v23, -v4, v21, v17
	v_fmac_f32_e32 v21, v23, v6
	v_fma_f32 v4, -v4, v21, v17
	v_div_fmas_f32 v4, v4, v6, v21
	v_div_fixup_f32 v3, v4, s42, v3
	v_and_b32_e32 v6, 0x7f800000, v3
	v_or_b32_sdwa v28, v3, s85 dst_sel:DWORD dst_unused:UNUSED_PAD src0_sel:BYTE_3 src1_sel:DWORD
	v_cmp_ne_u64_e32 vcc, s[50:51], v[6:7]
	s_and_saveexec_b64 s[0:1], vcc
	s_xor_b64 s[4:5], exec, s[0:1]
	s_cbranch_execz .LBB1_200
; %bb.191:                              ;   in Loop: Header=BB1_130 Depth=2
	v_and_b32_e32 v6, 0x7fffffff, v3
	v_cmp_gt_u64_e32 vcc, s[52:53], v[6:7]
	s_and_saveexec_b64 s[0:1], vcc
	s_xor_b64 s[6:7], exec, s[0:1]
	s_cbranch_execz .LBB1_199
; %bb.192:                              ;   in Loop: Header=BB1_130 Depth=2
	v_cmp_ne_u32_e32 vcc, 0, v3
	v_pk_mov_b32 v[28:29], 0, 0
	s_and_saveexec_b64 s[8:9], vcc
	s_cbranch_execz .LBB1_198
; %bb.193:                              ;   in Loop: Header=BB1_130 Depth=2
	v_bfe_u32 v6, v3, 23, 8
	v_sub_u32_e32 v21, 0x78, v6
	v_cmp_gt_u32_e32 vcc, s76, v6
	v_and_b32_e32 v4, 0x7fffff, v3
	v_cndmask_b32_e32 v21, 0, v21, vcc
	v_cmp_eq_u32_e32 vcc, 0, v6
	v_or_b32_e32 v23, 0x800000, v4
	v_cndmask_b32_e32 v21, v21, v44, vcc
	v_add_u32_e32 v17, 0xffffff81, v6
	v_cndmask_b32_e32 v6, v23, v4, vcc
	v_add_u32_e32 v4, 20, v21
	v_lshlrev_b64 v[28:29], v4, -1
	v_not_b32_e32 v4, v28
	v_and_b32_e32 v28, v6, v4
	v_add_u32_e32 v4, 19, v21
	v_lshrrev_b64 v[32:33], v21, v[6:7]
	v_cndmask_b32_e32 v17, v17, v43, vcc
	v_lshlrev_b64 v[30:31], v4, 1
	v_lshrrev_b32_e32 v4, 23, v32
	v_mov_b32_e32 v29, v7
	v_add3_u32 v17, v21, v17, v4
	v_bfe_u32 v4, v32, 20, 1
	v_add_u32_e32 v4, -1, v4
	v_cmp_eq_u64_e32 vcc, v[28:29], v[30:31]
	v_cndmask_b32_e32 v4, 0, v4, vcc
	v_add_u32_e32 v4, v4, v32
	v_and_b32_e32 v4, 0xfffff, v4
	v_add_co_u32_e32 v28, vcc, v4, v32
	v_add_u32_e32 v6, 7, v17
	v_addc_co_u32_e32 v29, vcc, 0, v33, vcc
	v_cmp_ne_u32_e32 vcc, 0, v6
                                        ; implicit-def: $vgpr4
	s_and_saveexec_b64 s[0:1], vcc
	s_xor_b64 s[0:1], exec, s[0:1]
; %bb.194:                              ;   in Loop: Header=BB1_130 Depth=2
	v_add_u32_e32 v4, 8, v17
	v_cmp_lt_u64_e32 vcc, s[54:55], v[28:29]
	v_cndmask_b32_e32 v4, v6, v4, vcc
	v_cndmask_b32_e64 v6, 0, 1, vcc
	v_lshrrev_b64 v[28:29], v6, v[28:29]
; %bb.195:                              ;   in Loop: Header=BB1_130 Depth=2
	s_andn2_saveexec_b64 s[0:1], s[0:1]
; %bb.196:                              ;   in Loop: Header=BB1_130 Depth=2
	v_bfe_u32 v4, v28, 23, 1
; %bb.197:                              ;   in Loop: Header=BB1_130 Depth=2
	s_or_b64 exec, exec, s[0:1]
	v_lshrrev_b64 v[28:29], 20, v[28:29]
	v_cmp_gt_i32_e32 vcc, 16, v4
	v_and_b32_sdwa v3, v3, s84 dst_sel:DWORD dst_unused:UNUSED_PAD src0_sel:BYTE_3 src1_sel:DWORD
	v_min_i32_e32 v6, 15, v4
	v_cndmask_b32_e32 v29, 0, v29, vcc
	v_cndmask_b32_e32 v28, 7, v28, vcc
	v_cmp_eq_u32_e32 vcc, 0, v4
	v_cmp_eq_u64_e64 s[0:1], 0, v[28:29]
	v_lshl_or_b32 v3, v6, 3, v3
	v_and_or_b32 v3, v28, 7, v3
	s_and_b64 s[0:1], vcc, s[0:1]
	v_cndmask_b32_e64 v28, v3, 0, s[0:1]
.LBB1_198:                              ;   in Loop: Header=BB1_130 Depth=2
	s_or_b64 exec, exec, s[8:9]
.LBB1_199:                              ;   in Loop: Header=BB1_130 Depth=2
	s_andn2_saveexec_b64 s[0:1], s[6:7]
	s_or_b64 exec, exec, s[0:1]
.LBB1_200:                              ;   in Loop: Header=BB1_130 Depth=2
	s_andn2_saveexec_b64 s[0:1], s[4:5]
	s_or_b64 exec, exec, s[0:1]
	v_and_b32_e32 v3, 0xffff0000, v5
	v_div_scale_f32 v4, s[0:1], s42, s42, v3
	v_rcp_f32_e32 v5, v4
	v_div_scale_f32 v6, vcc, v3, s42, v3
	v_fma_f32 v17, -v4, v5, 1.0
	v_fmac_f32_e32 v5, v17, v5
	v_mul_f32_e32 v17, v6, v5
	v_fma_f32 v21, -v4, v17, v6
	v_fmac_f32_e32 v17, v21, v5
	v_fma_f32 v4, -v4, v17, v6
	v_div_fmas_f32 v4, v4, v5, v17
	v_div_fixup_f32 v3, v4, s42, v3
	v_and_b32_e32 v6, 0x7f800000, v3
	v_or_b32_sdwa v4, v3, s85 dst_sel:DWORD dst_unused:UNUSED_PAD src0_sel:BYTE_3 src1_sel:DWORD
	v_cmp_ne_u64_e32 vcc, s[50:51], v[6:7]
	s_and_saveexec_b64 s[0:1], vcc
	s_xor_b64 s[4:5], exec, s[0:1]
	s_cbranch_execz .LBB1_129
; %bb.201:                              ;   in Loop: Header=BB1_130 Depth=2
	v_and_b32_e32 v6, 0x7fffffff, v3
	v_cmp_gt_u64_e32 vcc, s[52:53], v[6:7]
	s_and_saveexec_b64 s[0:1], vcc
	s_xor_b64 s[6:7], exec, s[0:1]
	s_cbranch_execz .LBB1_128
; %bb.202:                              ;   in Loop: Header=BB1_130 Depth=2
	v_cmp_ne_u32_e32 vcc, 0, v3
	v_pk_mov_b32 v[4:5], 0, 0
	s_and_saveexec_b64 s[8:9], vcc
	s_cbranch_execz .LBB1_127
; %bb.203:                              ;   in Loop: Header=BB1_130 Depth=2
	v_bfe_u32 v5, v3, 23, 8
	v_sub_u32_e32 v17, 0x78, v5
	v_cmp_gt_u32_e32 vcc, s76, v5
	v_and_b32_e32 v4, 0x7fffff, v3
	v_cndmask_b32_e32 v17, 0, v17, vcc
	v_cmp_eq_u32_e32 vcc, 0, v5
	v_add_u32_e32 v6, 0xffffff81, v5
	v_or_b32_e32 v21, 0x800000, v4
	v_cndmask_b32_e32 v17, v17, v44, vcc
	v_cndmask_b32_e32 v23, v6, v43, vcc
	;; [unrolled: 1-line block ×3, first 2 shown]
	v_add_u32_e32 v4, 20, v17
	v_lshlrev_b64 v[4:5], v4, -1
	v_not_b32_e32 v4, v4
	v_lshrrev_b64 v[32:33], v17, v[6:7]
	v_and_b32_e32 v4, v6, v4
	v_add_u32_e32 v21, 19, v17
	v_lshrrev_b32_e32 v6, 23, v32
	v_mov_b32_e32 v5, v7
	v_lshlrev_b64 v[30:31], v21, 1
	v_add3_u32 v21, v17, v23, v6
	v_bfe_u32 v6, v32, 20, 1
	v_add_u32_e32 v6, -1, v6
	v_cmp_eq_u64_e32 vcc, v[4:5], v[30:31]
	v_cndmask_b32_e32 v4, 0, v6, vcc
	v_add_u32_e32 v4, v4, v32
	v_and_b32_e32 v4, 0xfffff, v4
	v_add_co_u32_e32 v4, vcc, v4, v32
	v_add_u32_e32 v17, 7, v21
	v_addc_co_u32_e32 v5, vcc, 0, v33, vcc
	v_cmp_ne_u32_e32 vcc, 0, v17
                                        ; implicit-def: $vgpr6
	s_and_saveexec_b64 s[0:1], vcc
	s_xor_b64 s[0:1], exec, s[0:1]
; %bb.204:                              ;   in Loop: Header=BB1_130 Depth=2
	v_add_u32_e32 v6, 8, v21
	v_cmp_lt_u64_e32 vcc, s[54:55], v[4:5]
	v_cndmask_b32_e32 v6, v17, v6, vcc
	v_cndmask_b32_e64 v17, 0, 1, vcc
	v_lshrrev_b64 v[4:5], v17, v[4:5]
; %bb.205:                              ;   in Loop: Header=BB1_130 Depth=2
	s_andn2_saveexec_b64 s[0:1], s[0:1]
	s_cbranch_execz .LBB1_126
; %bb.206:                              ;   in Loop: Header=BB1_130 Depth=2
	v_bfe_u32 v6, v4, 23, 1
	s_branch .LBB1_126
.LBB1_207:                              ;   in Loop: Header=BB1_7 Depth=1
	s_or_b64 exec, exec, s[2:3]
	s_andn2_b64 vcc, exec, s[34:35]
	s_cbranch_vccnz .LBB1_6
; %bb.208:                              ;   in Loop: Header=BB1_7 Depth=1
	s_andn2_b64 vcc, exec, s[68:69]
	s_cbranch_vccnz .LBB1_212
; %bb.209:                              ;   in Loop: Header=BB1_7 Depth=1
	v_mov_b32_e32 v2, s72
	v_add_co_u32_e32 v3, vcc, s83, v8
	v_addc_co_u32_e32 v4, vcc, v2, v9, vcc
	v_add_co_u32_e32 v2, vcc, v3, v10
	v_addc_co_u32_e32 v3, vcc, v4, v11, vcc
	v_add_co_u32_e32 v4, vcc, v13, v36
	v_readlane_b32 s0, v72, 7
	v_addc_co_u32_e32 v5, vcc, v45, v37, vcc
	v_mov_b32_e32 v6, s0
	v_readlane_b32 s0, v72, 6
	v_add_co_u32_e32 v4, vcc, s0, v4
	v_addc_co_u32_e32 v5, vcc, v6, v5, vcc
	s_mov_b32 s56, s88
.LBB1_210:                              ;   Parent Loop BB1_7 Depth=1
                                        ; =>  This Inner Loop Header: Depth=2
	global_load_dwordx2 v[28:29], v[2:3], off
	v_add_co_u32_e32 v2, vcc, 8, v2
	v_addc_co_u32_e32 v3, vcc, 0, v3, vcc
	v_mov_b32_e32 v41, v7
	v_mov_b32_e32 v37, v7
	;; [unrolled: 1-line block ×13, first 2 shown]
	s_add_i32 s56, s56, -4
	s_mov_b32 s57, s88
	s_mov_b64 s[28:29], s[44:45]
	s_waitcnt vmcnt(0)
	v_lshlrev_b32_e32 v18, 16, v29
	v_and_b32_e32 v6, 0xffff0000, v29
	v_div_scale_f32 v20, s[0:1], s95, s95, v18
	v_lshlrev_b32_e32 v16, 16, v28
	v_div_scale_f32 v24, s[0:1], s80, s80, v6
	v_rcp_f32_e32 v34, v20
	v_and_b32_e32 v14, 0xffff0000, v28
	v_div_scale_f32 v28, s[2:3], s93, s93, v16
	v_rcp_f32_e32 v36, v24
	v_div_scale_f32 v30, s[4:5], s94, s94, v14
	v_rcp_f32_e32 v38, v28
	v_rcp_f32_e32 v46, v30
	v_fma_f32 v40, -v20, v34, 1.0
	v_div_scale_f32 v22, vcc, v18, s95, v18
	v_fma_f32 v47, -v24, v36, 1.0
	v_fmac_f32_e32 v34, v40, v34
	v_div_scale_f32 v26, s[0:1], v6, s80, v6
	v_fma_f32 v48, -v28, v38, 1.0
	v_fmac_f32_e32 v36, v47, v36
	v_mul_f32_e32 v40, v22, v34
	v_div_scale_f32 v29, s[2:3], v16, s93, v16
	v_fma_f32 v49, -v30, v46, 1.0
	v_fmac_f32_e32 v38, v48, v38
	v_mul_f32_e32 v47, v26, v36
	v_fma_f32 v50, -v20, v40, v22
	v_div_scale_f32 v32, s[4:5], v14, s94, v14
	v_fmac_f32_e32 v46, v49, v46
	v_mul_f32_e32 v48, v29, v38
	v_fma_f32 v51, -v24, v47, v26
	v_fmac_f32_e32 v40, v50, v34
	v_mul_f32_e32 v49, v32, v46
	v_fma_f32 v52, -v28, v48, v29
	v_fmac_f32_e32 v47, v51, v36
	v_fma_f32 v20, -v20, v40, v22
	v_fma_f32 v53, -v30, v49, v32
	v_fmac_f32_e32 v48, v52, v38
	v_fma_f32 v22, -v24, v47, v26
	v_div_fmas_f32 v20, v20, v34, v40
	s_mov_b64 vcc, s[0:1]
	v_fmac_f32_e32 v49, v53, v46
	v_fma_f32 v24, -v28, v48, v29
	v_div_fixup_f32 v18, v20, s95, v18
	v_div_fmas_f32 v20, v22, v36, v47
	s_mov_b64 vcc, s[2:3]
	v_fma_f32 v26, -v30, v49, v32
	v_div_fmas_f32 v22, v24, v38, v48
	s_mov_b64 vcc, s[4:5]
	v_div_fixup_f32 v20, v20, s80, v6
	v_and_b32_e32 v28, 0x7fffff, v18
	v_bfe_u32 v24, v18, 23, 8
	v_and_b32_e32 v6, 0x7f800000, v18
	v_and_b32_e32 v40, 0x7fffffff, v18
	v_div_fixup_f32 v16, v22, s93, v16
	v_div_fmas_f32 v22, v26, v46, v49
	v_bfe_u32 v29, v20, 23, 8
	v_and_b32_e32 v36, 0x7f800000, v20
	v_cmp_ne_u64_e32 vcc, s[50:51], v[6:7]
	v_and_b32_e32 v38, 0x7fffffff, v20
	v_cmp_gt_u64_e64 s[4:5], s[52:53], v[40:41]
	v_add_u32_e32 v6, 0xffffff81, v24
	v_cmp_eq_u32_e64 s[10:11], 0, v24
	v_sub_u32_e32 v30, 0x78, v24
	v_or_b32_e32 v32, 0x800000, v28
	v_cmp_gt_u32_e64 s[12:13], s76, v24
	v_div_fixup_f32 v14, v22, s94, v14
	v_cmp_eq_u32_e64 s[0:1], 0, v18
	v_cmp_ne_u32_e64 s[2:3], 0, v18
	v_and_b32_e32 v26, 0x7fffff, v20
	v_and_b32_sdwa v49, v20, s84 dst_sel:DWORD dst_unused:UNUSED_PAD src0_sel:BYTE_3 src1_sel:DWORD
	v_cmp_eq_u32_e64 s[6:7], 0, v20
	v_cmp_ne_u32_e64 s[8:9], 0, v20
	v_or_b32_sdwa v40, v20, s85 dst_sel:DWORD dst_unused:UNUSED_PAD src0_sel:BYTE_3 src1_sel:DWORD
	v_and_b32_e32 v22, 0x7fffff, v16
	v_bfe_u32 v20, v16, 23, 8
	v_and_b32_sdwa v50, v16, s84 dst_sel:DWORD dst_unused:UNUSED_PAD src0_sel:BYTE_3 src1_sel:DWORD
	v_and_b32_e32 v24, 0x7f800000, v16
	v_cmp_ne_u64_e64 s[14:15], s[50:51], v[36:37]
	v_and_b32_e32 v34, 0x7fffffff, v16
	v_cmp_gt_u64_e64 s[16:17], s[52:53], v[38:39]
	s_and_b64 s[26:27], vcc, s[4:5]
	v_cmp_eq_u32_e64 s[4:5], 0, v16
	v_cmp_ne_u32_e64 s[18:19], 0, v16
	v_add_u32_e32 v36, 0xffffff81, v29
	v_cmp_eq_u32_e64 s[20:21], 0, v29
	v_sub_u32_e32 v37, 0x78, v29
	v_cmp_gt_u32_e64 s[22:23], s76, v29
	v_cndmask_b32_e64 v29, 0, v30, s[12:13]
	v_cndmask_b32_e64 v41, v6, v43, s[10:11]
	;; [unrolled: 1-line block ×3, first 2 shown]
	v_or_b32_sdwa v28, v16, s85 dst_sel:DWORD dst_unused:UNUSED_PAD src0_sel:BYTE_3 src1_sel:DWORD
	v_and_b32_e32 v16, 0x7f800000, v14
	v_and_b32_e32 v6, 0x7fffffff, v14
	v_and_b32_sdwa v48, v18, s84 dst_sel:DWORD dst_unused:UNUSED_PAD src0_sel:BYTE_3 src1_sel:DWORD
	v_or_b32_sdwa v18, v18, s85 dst_sel:DWORD dst_unused:UNUSED_PAD src0_sel:BYTE_3 src1_sel:DWORD
	v_or_b32_e32 v30, 0x800000, v26
	v_and_b32_e32 v38, 0x7fffff, v14
	v_bfe_u32 v39, v14, 23, 8
	v_cmp_ne_u64_e64 s[12:13], s[50:51], v[24:25]
	v_cmp_gt_u64_e64 s[24:25], s[52:53], v[34:35]
	s_and_b64 s[58:59], s[14:15], s[16:17]
	s_and_b64 s[0:1], s[26:27], s[0:1]
	s_and_b64 vcc, s[26:27], s[2:3]
	v_sub_u32_e32 v24, 0x78, v20
	v_cmp_gt_u32_e64 s[2:3], s76, v20
	v_cndmask_b32_e64 v25, 0, v37, s[22:23]
	v_cndmask_b32_e64 v47, v29, v44, s[10:11]
	v_cmp_ne_u64_e64 s[10:11], s[50:51], v[16:17]
	v_cmp_gt_u64_e64 s[22:23], s[52:53], v[6:7]
	v_cmp_eq_u32_e64 s[14:15], 0, v14
	v_cndmask_b32_e64 v52, v18, 0, s[0:1]
	v_add_u32_e32 v18, 0xffffff81, v20
	v_cmp_eq_u32_e64 s[26:27], 0, v20
	v_or_b32_e32 v34, 0x800000, v22
	v_cndmask_b32_e64 v20, v30, v26, s[20:21]
	s_and_b64 s[12:13], s[12:13], s[24:25]
	s_and_b64 s[0:1], s[58:59], s[6:7]
	v_add_u32_e32 v6, 0xffffff81, v39
	v_cmp_eq_u32_e64 s[6:7], 0, v39
	v_cndmask_b32_e64 v24, 0, v24, s[2:3]
	v_or_b32_e32 v30, 0x800000, v38
	v_cndmask_b32_e64 v54, v25, v44, s[20:21]
	s_and_b64 s[10:11], s[10:11], s[22:23]
	v_and_b32_sdwa v51, v14, s84 dst_sel:DWORD dst_unused:UNUSED_PAD src0_sel:BYTE_3 src1_sel:DWORD
	v_cmp_ne_u32_e64 s[16:17], 0, v14
	v_or_b32_sdwa v26, v14, s85 dst_sel:DWORD dst_unused:UNUSED_PAD src0_sel:BYTE_3 src1_sel:DWORD
	v_cndmask_b32_e64 v53, v40, 0, s[0:1]
	s_and_b64 s[0:1], s[58:59], s[8:9]
	v_sub_u32_e32 v29, 0x78, v39
	v_cmp_gt_u32_e64 s[8:9], s76, v39
	v_cndmask_b32_e64 v14, v34, v22, s[26:27]
	v_add_u32_e32 v22, 20, v47
	v_add_u32_e32 v34, 19, v47
	v_lshrrev_b64 v[16:17], v47, v[32:33]
	s_and_b64 s[2:3], s[12:13], s[4:5]
	v_cndmask_b32_e64 v56, v6, v43, s[6:7]
	v_cndmask_b32_e64 v57, v24, v44, s[26:27]
	;; [unrolled: 1-line block ×3, first 2 shown]
	v_add_u32_e32 v30, 20, v54
	s_and_b64 s[4:5], s[10:11], s[14:15]
	v_cndmask_b32_e64 v46, v36, v43, s[20:21]
	v_cndmask_b32_e64 v55, v28, 0, s[2:3]
	;; [unrolled: 1-line block ×3, first 2 shown]
	v_lshlrev_b64 v[24:25], v22, -1
	v_lshlrev_b64 v[28:29], v34, 1
	v_lshrrev_b64 v[34:35], v54, v[20:21]
	v_lshrrev_b32_e32 v21, 23, v16
	v_bfe_u32 v40, v16, 20, 1
	v_cndmask_b32_e64 v58, v26, 0, s[4:5]
	v_add_u32_e32 v26, 20, v57
	v_lshlrev_b64 v[36:37], v30, -1
	v_add_u32_e32 v22, 19, v54
	v_cndmask_b32_e64 v59, v33, v44, s[6:7]
	v_not_b32_e32 v30, v24
	v_add3_u32 v21, v47, v41, v21
	v_add_u32_e32 v60, -1, v40
	v_lshlrev_b64 v[40:41], v26, -1
	v_not_b32_e32 v26, v36
	v_lshlrev_b64 v[24:25], v22, 1
	v_lshrrev_b64 v[38:39], v57, v[14:15]
	v_lshrrev_b32_e32 v15, 23, v34
	v_bfe_u32 v22, v34, 20, 1
	v_add_u32_e32 v47, 20, v59
	v_and_b32_e32 v30, v32, v30
	v_and_b32_e32 v26, v20, v26
	v_cndmask_b32_e64 v18, v18, v43, s[26:27]
	v_add_u32_e32 v33, 19, v57
	v_add_u32_e32 v41, 19, v59
	v_lshrrev_b32_e32 v61, 23, v38
	v_add3_u32 v15, v54, v46, v15
	v_add_u32_e32 v63, -1, v22
	v_lshlrev_b64 v[46:47], v47, -1
	v_not_b32_e32 v22, v40
	v_cmp_eq_u64_e64 s[6:7], v[30:31], v[28:29]
	v_cmp_eq_u64_e64 s[8:9], v[26:27], v[24:25]
	v_lshlrev_b64 v[32:33], v33, 1
	v_lshrrev_b64 v[36:37], v59, v[6:7]
	v_add_u32_e32 v54, 7, v21
	v_add_u32_e32 v64, 8, v21
	v_lshlrev_b64 v[20:21], v41, 1
	v_add3_u32 v18, v57, v18, v61
	v_add_u32_e32 v41, 7, v15
	v_cndmask_b32_e64 v28, 0, v60, s[6:7]
	v_add_u32_e32 v29, 8, v15
	v_not_b32_e32 v15, v46
	v_and_b32_e32 v22, v14, v22
	v_cndmask_b32_e64 v24, 0, v63, s[8:9]
	s_and_b64 s[4:5], s[10:11], s[16:17]
	v_bfe_u32 v62, v38, 20, 1
	v_lshrrev_b32_e32 v40, 23, v36
	v_bfe_u32 v47, v36, 20, 1
	v_add_u32_e32 v30, 7, v18
	v_add_u32_e32 v25, v28, v16
	;; [unrolled: 1-line block ×3, first 2 shown]
	v_and_b32_e32 v18, v6, v15
	v_cmp_eq_u64_e64 s[10:11], v[22:23], v[32:33]
	v_add_u32_e32 v22, v24, v34
	s_and_b64 s[2:3], s[12:13], s[18:19]
	v_add_u32_e32 v57, -1, v62
	v_add3_u32 v14, v59, v56, v40
	v_add_u32_e32 v31, -1, v47
	v_and_b32_e32 v23, 0xfffff, v25
	v_cmp_eq_u64_e64 s[12:13], v[18:19], v[20:21]
	v_and_b32_e32 v20, 0xfffff, v22
	v_add_u32_e32 v6, 7, v14
	v_cndmask_b32_e64 v15, 0, v57, s[10:11]
	v_add_u32_e32 v24, 8, v14
	v_cndmask_b32_e64 v18, 0, v31, s[12:13]
	v_add_co_u32_e64 v14, s[12:13], v23, v16
	v_add_co_u32_e64 v16, s[14:15], v20, v34
	v_add_u32_e32 v19, v15, v38
	v_addc_co_u32_e64 v15, s[12:13], 0, v17, s[12:13]
	v_addc_co_u32_e64 v17, s[14:15], 0, v35, s[14:15]
	v_cmp_ne_u32_e64 s[6:7], 0, v54
	v_cmp_lt_u64_e64 s[14:15], s[54:55], v[14:15]
	v_add_u32_e32 v18, v18, v36
	v_and_b32_e32 v19, 0xfffff, v19
	v_cndmask_b32_e64 v20, v54, v64, s[14:15]
	v_bfe_u32 v21, v14, 23, 1
	s_and_b64 s[6:7], vcc, s[6:7]
	v_and_b32_e32 v22, 0xfffff, v18
	v_add_co_u32_e64 v18, s[16:17], v19, v38
	v_cndmask_b32_e64 v27, v21, v20, s[6:7]
	s_and_b64 s[6:7], s[6:7], s[14:15]
	v_addc_co_u32_e64 v19, s[16:17], 0, v39, s[16:17]
	v_cndmask_b32_e64 v28, 0, 1, s[6:7]
	v_add_co_u32_e64 v20, s[6:7], v22, v36
	v_cmp_ne_u32_e64 s[8:9], 0, v41
	v_cmp_ne_u32_e64 s[10:11], 0, v30
	v_cmp_lt_u64_e64 s[16:17], s[54:55], v[16:17]
	v_addc_co_u32_e64 v21, s[6:7], 0, v37, s[6:7]
	v_cndmask_b32_e64 v23, v41, v29, s[16:17]
	v_bfe_u32 v25, v16, 23, 1
	s_and_b64 s[8:9], s[0:1], s[8:9]
	v_cmp_lt_u64_e64 s[6:7], s[54:55], v[18:19]
	s_and_b64 s[10:11], s[2:3], s[10:11]
	v_cmp_ne_u32_e64 s[12:13], 0, v6
	v_cndmask_b32_e64 v22, v30, v26, s[6:7]
	v_bfe_u32 v26, v18, 23, 1
	v_cndmask_b32_e64 v23, v25, v23, s[8:9]
	s_and_b64 s[8:9], s[8:9], s[16:17]
	v_lshrrev_b64 v[14:15], v28, v[14:15]
	v_cmp_lt_u64_e64 s[14:15], s[54:55], v[20:21]
	s_and_b64 s[6:7], s[10:11], s[6:7]
	v_cndmask_b32_e64 v25, 0, 1, s[8:9]
	v_cndmask_b32_e64 v6, v6, v24, s[14:15]
	v_bfe_u32 v24, v20, 23, 1
	v_cndmask_b32_e64 v22, v26, v22, s[10:11]
	v_cndmask_b32_e64 v26, 0, 1, s[6:7]
	v_lshrrev_b64 v[14:15], 20, v[14:15]
	v_cmp_gt_i32_e64 s[6:7], 16, v27
	s_and_b64 s[12:13], s[4:5], s[12:13]
	v_min_i32_e32 v28, 15, v27
	v_lshrrev_b64 v[16:17], v25, v[16:17]
	v_cndmask_b32_e64 v6, v24, v6, s[12:13]
	s_and_b64 s[12:13], s[12:13], s[14:15]
	v_cndmask_b32_e64 v15, 0, v15, s[6:7]
	v_cndmask_b32_e64 v14, 7, v14, s[6:7]
	v_cmp_eq_u32_e64 s[8:9], 0, v27
	v_lshl_or_b32 v27, v28, 3, v48
	v_cndmask_b32_e64 v24, 0, 1, s[12:13]
	v_lshrrev_b64 v[18:19], v26, v[18:19]
	v_lshrrev_b64 v[16:17], 20, v[16:17]
	v_min_i32_e32 v26, 15, v22
	v_cmp_gt_i32_e64 s[12:13], 16, v23
	v_cmp_eq_u64_e64 s[14:15], 0, v[14:15]
	v_min_i32_e32 v25, 15, v23
	v_lshrrev_b64 v[20:21], v24, v[20:21]
	v_lshrrev_b64 v[18:19], 20, v[18:19]
	v_cndmask_b32_e64 v17, 0, v17, s[12:13]
	v_cndmask_b32_e64 v16, 7, v16, s[12:13]
	v_lshl_or_b32 v24, v26, 3, v50
	v_and_or_b32 v26, v14, 7, v27
	v_cmp_gt_i32_e64 s[16:17], 16, v22
	s_and_b64 s[8:9], s[8:9], s[14:15]
	v_cmp_eq_u32_e64 s[10:11], 0, v23
	v_lshl_or_b32 v25, v25, 3, v49
	v_lshrrev_b64 v[14:15], 20, v[20:21]
	v_cndmask_b32_e64 v19, 0, v19, s[16:17]
	v_cndmask_b32_e64 v18, 7, v18, s[16:17]
	v_cmp_eq_u64_e64 s[16:17], 0, v[16:17]
	v_cndmask_b32_e64 v20, v26, 0, s[8:9]
	v_cmp_gt_i32_e64 s[8:9], 16, v6
	v_min_i32_e32 v23, 15, v6
	v_and_or_b32 v16, v16, 7, v25
	v_cndmask_b32_e64 v15, 0, v15, s[8:9]
	v_cndmask_b32_e64 v14, 7, v14, s[8:9]
	s_and_b64 s[10:11], s[10:11], s[16:17]
	v_cmp_eq_u32_e64 s[12:13], 0, v6
	v_lshl_or_b32 v17, v23, 3, v51
	v_cmp_eq_u64_e64 s[8:9], 0, v[18:19]
	v_and_or_b32 v6, v18, 7, v24
	v_cndmask_b32_e64 v16, v16, 0, s[10:11]
	v_cndmask_b32_e32 v18, v52, v20, vcc
	v_cmp_eq_u64_e32 vcc, 0, v[14:15]
	v_cmp_eq_u32_e64 s[6:7], 0, v22
	v_and_or_b32 v14, v14, 7, v17
	v_cndmask_b32_e64 v15, v53, v16, s[0:1]
	s_and_b64 s[0:1], s[12:13], vcc
	s_and_b64 s[6:7], s[6:7], s[8:9]
	v_cndmask_b32_e64 v14, v14, 0, s[0:1]
	v_cndmask_b32_e64 v6, v6, 0, s[6:7]
	;; [unrolled: 1-line block ×4, first 2 shown]
	v_lshlrev_b16_e32 v15, 8, v15
	v_lshlrev_b16_e32 v14, 8, v14
	v_or_b32_sdwa v15, v18, v15 dst_sel:WORD_1 dst_unused:UNUSED_PAD src0_sel:BYTE_0 src1_sel:DWORD
	v_or_b32_sdwa v6, v6, v14 dst_sel:DWORD dst_unused:UNUSED_PAD src0_sel:BYTE_0 src1_sel:DWORD
	v_or_b32_sdwa v6, v6, v15 dst_sel:DWORD dst_unused:UNUSED_PAD src0_sel:WORD_0 src1_sel:DWORD
	global_store_dword v[4:5], v6, off
	v_add_co_u32_e32 v4, vcc, 4, v4
	s_cmp_lg_u32 s56, 0
	v_addc_co_u32_e32 v5, vcc, 0, v5, vcc
	s_cbranch_scc1 .LBB1_210
; %bb.211:                              ;   in Loop: Header=BB1_7 Depth=1
	s_and_b64 vcc, exec, s[28:29]
	s_cbranch_vccz .LBB1_6
	s_branch .LBB1_213
.LBB1_212:                              ;   in Loop: Header=BB1_7 Depth=1
	s_mov_b32 s57, 0
	s_cbranch_execz .LBB1_6
.LBB1_213:                              ;   in Loop: Header=BB1_7 Depth=1
	v_mov_b32_e32 v4, s79
	v_add_co_u32_e32 v5, vcc, s82, v13
	v_mul_lo_u32 v2, v12, s40
	v_addc_co_u32_e32 v4, vcc, v4, v45, vcc
	v_ashrrev_i32_e32 v3, 31, v2
	v_add_co_u32_e32 v2, vcc, v5, v2
	v_addc_co_u32_e32 v3, vcc, v4, v3, vcc
	v_mov_b32_e32 v4, s73
	v_add_co_u32_e32 v12, vcc, s63, v2
	v_addc_co_u32_e32 v13, vcc, v3, v4, vcc
	s_sub_i32 s8, s41, s57
	s_lshl_b32 s0, s57, 1
	v_add_co_u32_e32 v2, vcc, v10, v8
	s_add_u32 s0, s83, s0
	v_addc_co_u32_e32 v3, vcc, v11, v9, vcc
	s_addc_u32 s1, s72, 0
	v_mov_b32_e32 v4, s1
	v_add_co_u32_e32 v2, vcc, s0, v2
	s_mul_i32 s9, s40, s57
	v_addc_co_u32_e32 v3, vcc, v4, v3, vcc
	s_branch .LBB1_218
.LBB1_214:                              ;   in Loop: Header=BB1_218 Depth=2
	s_or_b64 exec, exec, s[0:1]
	v_lshrrev_b64 v[4:5], 20, v[4:5]
	v_cmp_gt_i32_e32 vcc, 16, v6
	v_and_b32_sdwa v8, v8, s84 dst_sel:DWORD dst_unused:UNUSED_PAD src0_sel:BYTE_3 src1_sel:DWORD
	v_min_i32_e32 v9, 15, v6
	v_cndmask_b32_e32 v5, 0, v5, vcc
	v_cndmask_b32_e32 v4, 7, v4, vcc
	v_cmp_eq_u32_e32 vcc, 0, v6
	v_cmp_eq_u64_e64 s[0:1], 0, v[4:5]
	v_lshl_or_b32 v5, v9, 3, v8
	v_and_or_b32 v4, v4, 7, v5
	s_and_b64 s[0:1], vcc, s[0:1]
	v_cndmask_b32_e64 v4, v4, 0, s[0:1]
.LBB1_215:                              ;   in Loop: Header=BB1_218 Depth=2
	s_or_b64 exec, exec, s[6:7]
.LBB1_216:                              ;   in Loop: Header=BB1_218 Depth=2
	s_andn2_saveexec_b64 s[0:1], s[4:5]
	s_or_b64 exec, exec, s[0:1]
.LBB1_217:                              ;   in Loop: Header=BB1_218 Depth=2
	s_andn2_saveexec_b64 s[0:1], s[2:3]
	s_or_b64 exec, exec, s[0:1]
	s_ashr_i32 s0, s9, 31
	v_mov_b32_e32 v5, s0
	v_add_co_u32_e32 v8, vcc, s9, v12
	v_addc_co_u32_e32 v9, vcc, v13, v5, vcc
	s_add_i32 s8, s8, -1
	s_add_i32 s9, s9, s40
	v_add_co_u32_e32 v2, vcc, 2, v2
	s_cmp_eq_u32 s8, 0
	v_addc_co_u32_e32 v3, vcc, 0, v3, vcc
	global_store_byte v[8:9], v4, off
	s_cbranch_scc1 .LBB1_6
.LBB1_218:                              ;   Parent Loop BB1_7 Depth=1
                                        ; =>  This Inner Loop Header: Depth=2
	global_load_ushort v4, v[2:3], off
	s_waitcnt vmcnt(0)
	v_lshlrev_b32_e32 v4, 16, v4
	v_div_scale_f32 v5, s[0:1], s43, s43, v4
	v_rcp_f32_e32 v6, v5
	v_div_scale_f32 v8, vcc, v4, s43, v4
	v_fma_f32 v9, -v5, v6, 1.0
	v_fmac_f32_e32 v6, v9, v6
	v_mul_f32_e32 v9, v8, v6
	v_fma_f32 v10, -v5, v9, v8
	v_fmac_f32_e32 v9, v10, v6
	v_fma_f32 v5, -v5, v9, v8
	v_div_fmas_f32 v5, v5, v6, v9
	v_div_fixup_f32 v8, v5, s43, v4
	v_and_b32_e32 v6, 0x7f800000, v8
	v_or_b32_sdwa v4, v8, s85 dst_sel:DWORD dst_unused:UNUSED_PAD src0_sel:BYTE_3 src1_sel:DWORD
	v_cmp_ne_u64_e32 vcc, s[50:51], v[6:7]
	s_and_saveexec_b64 s[0:1], vcc
	s_xor_b64 s[2:3], exec, s[0:1]
	s_cbranch_execz .LBB1_217
; %bb.219:                              ;   in Loop: Header=BB1_218 Depth=2
	v_and_b32_e32 v6, 0x7fffffff, v8
	v_cmp_gt_u64_e32 vcc, s[52:53], v[6:7]
	s_and_saveexec_b64 s[0:1], vcc
	s_xor_b64 s[4:5], exec, s[0:1]
	s_cbranch_execz .LBB1_216
; %bb.220:                              ;   in Loop: Header=BB1_218 Depth=2
	v_cmp_ne_u32_e32 vcc, 0, v8
	v_mov_b32_e32 v4, 0
	s_and_saveexec_b64 s[6:7], vcc
	s_cbranch_execz .LBB1_215
; %bb.221:                              ;   in Loop: Header=BB1_218 Depth=2
	v_bfe_u32 v5, v8, 23, 8
	v_sub_u32_e32 v9, 0x78, v5
	v_cmp_gt_u32_e32 vcc, s76, v5
	v_and_b32_e32 v4, 0x7fffff, v8
	v_cndmask_b32_e32 v9, 0, v9, vcc
	v_cmp_eq_u32_e32 vcc, 0, v5
	v_add_u32_e32 v6, 0xffffff81, v5
	v_or_b32_e32 v10, 0x800000, v4
	v_cndmask_b32_e32 v9, v9, v44, vcc
	v_cndmask_b32_e32 v11, v6, v43, vcc
	;; [unrolled: 1-line block ×3, first 2 shown]
	v_add_u32_e32 v4, 20, v9
	v_lshlrev_b64 v[4:5], v4, -1
	v_not_b32_e32 v4, v4
	v_lshrrev_b64 v[16:17], v9, v[6:7]
	v_and_b32_e32 v4, v6, v4
	v_add_u32_e32 v10, 19, v9
	v_lshrrev_b32_e32 v6, 23, v16
	v_mov_b32_e32 v5, v7
	v_lshlrev_b64 v[14:15], v10, 1
	v_add3_u32 v10, v9, v11, v6
	v_bfe_u32 v6, v16, 20, 1
	v_add_u32_e32 v6, -1, v6
	v_cmp_eq_u64_e32 vcc, v[4:5], v[14:15]
	v_cndmask_b32_e32 v4, 0, v6, vcc
	v_add_u32_e32 v4, v4, v16
	v_and_b32_e32 v4, 0xfffff, v4
	v_add_co_u32_e32 v4, vcc, v4, v16
	v_add_u32_e32 v9, 7, v10
	v_addc_co_u32_e32 v5, vcc, 0, v17, vcc
	v_cmp_ne_u32_e32 vcc, 0, v9
                                        ; implicit-def: $vgpr6
	s_and_saveexec_b64 s[0:1], vcc
	s_xor_b64 s[0:1], exec, s[0:1]
; %bb.222:                              ;   in Loop: Header=BB1_218 Depth=2
	v_add_u32_e32 v6, 8, v10
	v_cmp_lt_u64_e32 vcc, s[54:55], v[4:5]
	v_cndmask_b32_e32 v6, v9, v6, vcc
	v_cndmask_b32_e64 v9, 0, 1, vcc
	v_lshrrev_b64 v[4:5], v9, v[4:5]
; %bb.223:                              ;   in Loop: Header=BB1_218 Depth=2
	s_andn2_saveexec_b64 s[0:1], s[0:1]
	s_cbranch_execz .LBB1_214
; %bb.224:                              ;   in Loop: Header=BB1_218 Depth=2
	v_bfe_u32 v6, v4, 23, 1
	s_branch .LBB1_214
.LBB1_225:
	s_endpgm
.LBB1_226:
                                        ; implicit-def: $sgpr0_sgpr1
	s_branch .LBB1_3
	.section	.rodata,"a",@progbits
	.p2align	6, 0x0
	.amdhsa_kernel _Z24reshape_and_cache_kernelI14__hip_bfloat16hL18Fp8KVCacheDataType1EEvPKT_S4_PT0_S6_PKliiiiiiff
		.amdhsa_group_segment_fixed_size 0
		.amdhsa_private_segment_fixed_size 0
		.amdhsa_kernarg_size 328
		.amdhsa_user_sgpr_count 6
		.amdhsa_user_sgpr_private_segment_buffer 1
		.amdhsa_user_sgpr_dispatch_ptr 0
		.amdhsa_user_sgpr_queue_ptr 0
		.amdhsa_user_sgpr_kernarg_segment_ptr 1
		.amdhsa_user_sgpr_dispatch_id 0
		.amdhsa_user_sgpr_flat_scratch_init 0
		.amdhsa_user_sgpr_kernarg_preload_length 0
		.amdhsa_user_sgpr_kernarg_preload_offset 0
		.amdhsa_user_sgpr_private_segment_size 0
		.amdhsa_uses_dynamic_stack 0
		.amdhsa_system_sgpr_private_segment_wavefront_offset 0
		.amdhsa_system_sgpr_workgroup_id_x 1
		.amdhsa_system_sgpr_workgroup_id_y 0
		.amdhsa_system_sgpr_workgroup_id_z 0
		.amdhsa_system_sgpr_workgroup_info 0
		.amdhsa_system_vgpr_workitem_id 0
		.amdhsa_next_free_vgpr 73
		.amdhsa_next_free_sgpr 96
		.amdhsa_accum_offset 76
		.amdhsa_reserve_vcc 1
		.amdhsa_reserve_flat_scratch 0
		.amdhsa_float_round_mode_32 0
		.amdhsa_float_round_mode_16_64 0
		.amdhsa_float_denorm_mode_32 3
		.amdhsa_float_denorm_mode_16_64 3
		.amdhsa_dx10_clamp 1
		.amdhsa_ieee_mode 1
		.amdhsa_fp16_overflow 0
		.amdhsa_tg_split 0
		.amdhsa_exception_fp_ieee_invalid_op 0
		.amdhsa_exception_fp_denorm_src 0
		.amdhsa_exception_fp_ieee_div_zero 0
		.amdhsa_exception_fp_ieee_overflow 0
		.amdhsa_exception_fp_ieee_underflow 0
		.amdhsa_exception_fp_ieee_inexact 0
		.amdhsa_exception_int_div_zero 0
	.end_amdhsa_kernel
	.section	.text._Z24reshape_and_cache_kernelI14__hip_bfloat16hL18Fp8KVCacheDataType1EEvPKT_S4_PT0_S6_PKliiiiiiff,"axG",@progbits,_Z24reshape_and_cache_kernelI14__hip_bfloat16hL18Fp8KVCacheDataType1EEvPKT_S4_PT0_S6_PKliiiiiiff,comdat
.Lfunc_end1:
	.size	_Z24reshape_and_cache_kernelI14__hip_bfloat16hL18Fp8KVCacheDataType1EEvPKT_S4_PT0_S6_PKliiiiiiff, .Lfunc_end1-_Z24reshape_and_cache_kernelI14__hip_bfloat16hL18Fp8KVCacheDataType1EEvPKT_S4_PT0_S6_PKliiiiiiff
                                        ; -- End function
	.section	.AMDGPU.csdata,"",@progbits
; Kernel info:
; codeLenInByte = 16292
; NumSgprs: 100
; NumVgprs: 73
; NumAgprs: 0
; TotalNumVgprs: 73
; ScratchSize: 0
; MemoryBound: 0
; FloatMode: 240
; IeeeMode: 1
; LDSByteSize: 0 bytes/workgroup (compile time only)
; SGPRBlocks: 12
; VGPRBlocks: 9
; NumSGPRsForWavesPerEU: 100
; NumVGPRsForWavesPerEU: 73
; AccumOffset: 76
; Occupancy: 6
; WaveLimiterHint : 0
; COMPUTE_PGM_RSRC2:SCRATCH_EN: 0
; COMPUTE_PGM_RSRC2:USER_SGPR: 6
; COMPUTE_PGM_RSRC2:TRAP_HANDLER: 0
; COMPUTE_PGM_RSRC2:TGID_X_EN: 1
; COMPUTE_PGM_RSRC2:TGID_Y_EN: 0
; COMPUTE_PGM_RSRC2:TGID_Z_EN: 0
; COMPUTE_PGM_RSRC2:TIDIG_COMP_CNT: 0
; COMPUTE_PGM_RSRC3_GFX90A:ACCUM_OFFSET: 18
; COMPUTE_PGM_RSRC3_GFX90A:TG_SPLIT: 0
	.text
	.p2alignl 6, 3212836864
	.fill 256, 4, 3212836864
	.type	__hip_cuid_82106355e0007d0f,@object ; @__hip_cuid_82106355e0007d0f
	.section	.bss,"aw",@nobits
	.globl	__hip_cuid_82106355e0007d0f
__hip_cuid_82106355e0007d0f:
	.byte	0                               ; 0x0
	.size	__hip_cuid_82106355e0007d0f, 1

	.ident	"AMD clang version 19.0.0git (https://github.com/RadeonOpenCompute/llvm-project roc-6.4.0 25133 c7fe45cf4b819c5991fe208aaa96edf142730f1d)"
	.section	".note.GNU-stack","",@progbits
	.addrsig
	.addrsig_sym __hip_cuid_82106355e0007d0f
	.amdgpu_metadata
---
amdhsa.kernels:
  - .agpr_count:     0
    .args:
      - .address_space:  global
        .offset:         0
        .size:           8
        .value_kind:     global_buffer
      - .actual_access:  read_only
        .address_space:  global
        .offset:         8
        .size:           8
        .value_kind:     global_buffer
      - .actual_access:  write_only
        .address_space:  global
        .offset:         16
        .size:           8
        .value_kind:     global_buffer
      - .actual_access:  write_only
        .address_space:  global
        .offset:         24
        .size:           8
        .value_kind:     global_buffer
      - .actual_access:  read_only
        .address_space:  global
        .offset:         32
        .size:           8
        .value_kind:     global_buffer
      - .offset:         40
        .size:           4
        .value_kind:     by_value
      - .offset:         44
        .size:           4
        .value_kind:     by_value
      - .offset:         48
        .size:           4
        .value_kind:     by_value
      - .offset:         52
        .size:           4
        .value_kind:     by_value
      - .offset:         56
        .size:           4
        .value_kind:     by_value
      - .offset:         60
        .size:           4
        .value_kind:     by_value
      - .offset:         64
        .size:           4
        .value_kind:     by_value
      - .offset:         68
        .size:           4
        .value_kind:     by_value
      - .offset:         72
        .size:           4
        .value_kind:     hidden_block_count_x
      - .offset:         76
        .size:           4
        .value_kind:     hidden_block_count_y
      - .offset:         80
        .size:           4
        .value_kind:     hidden_block_count_z
      - .offset:         84
        .size:           2
        .value_kind:     hidden_group_size_x
      - .offset:         86
        .size:           2
        .value_kind:     hidden_group_size_y
      - .offset:         88
        .size:           2
        .value_kind:     hidden_group_size_z
      - .offset:         90
        .size:           2
        .value_kind:     hidden_remainder_x
      - .offset:         92
        .size:           2
        .value_kind:     hidden_remainder_y
      - .offset:         94
        .size:           2
        .value_kind:     hidden_remainder_z
      - .offset:         112
        .size:           8
        .value_kind:     hidden_global_offset_x
      - .offset:         120
        .size:           8
        .value_kind:     hidden_global_offset_y
      - .offset:         128
        .size:           8
        .value_kind:     hidden_global_offset_z
      - .offset:         136
        .size:           2
        .value_kind:     hidden_grid_dims
    .group_segment_fixed_size: 0
    .kernarg_segment_align: 8
    .kernarg_segment_size: 328
    .language:       OpenCL C
    .language_version:
      - 2
      - 0
    .max_flat_workgroup_size: 1024
    .name:           _Z24reshape_and_cache_kernelIfhL18Fp8KVCacheDataType1EEvPKT_S3_PT0_S5_PKliiiiiiff
    .private_segment_fixed_size: 0
    .sgpr_count:     86
    .sgpr_spill_count: 0
    .symbol:         _Z24reshape_and_cache_kernelIfhL18Fp8KVCacheDataType1EEvPKT_S3_PT0_S5_PKliiiiiiff.kd
    .uniform_work_group_size: 1
    .uses_dynamic_stack: false
    .vgpr_count:     57
    .vgpr_spill_count: 0
    .wavefront_size: 64
  - .agpr_count:     0
    .args:
      - .address_space:  global
        .offset:         0
        .size:           8
        .value_kind:     global_buffer
      - .actual_access:  read_only
        .address_space:  global
        .offset:         8
        .size:           8
        .value_kind:     global_buffer
      - .actual_access:  write_only
        .address_space:  global
        .offset:         16
        .size:           8
        .value_kind:     global_buffer
      - .actual_access:  write_only
        .address_space:  global
        .offset:         24
        .size:           8
        .value_kind:     global_buffer
      - .actual_access:  read_only
        .address_space:  global
        .offset:         32
        .size:           8
        .value_kind:     global_buffer
      - .offset:         40
        .size:           4
        .value_kind:     by_value
      - .offset:         44
        .size:           4
        .value_kind:     by_value
      - .offset:         48
        .size:           4
        .value_kind:     by_value
      - .offset:         52
        .size:           4
        .value_kind:     by_value
      - .offset:         56
        .size:           4
        .value_kind:     by_value
      - .offset:         60
        .size:           4
        .value_kind:     by_value
      - .offset:         64
        .size:           4
        .value_kind:     by_value
      - .offset:         68
        .size:           4
        .value_kind:     by_value
      - .offset:         72
        .size:           4
        .value_kind:     hidden_block_count_x
      - .offset:         76
        .size:           4
        .value_kind:     hidden_block_count_y
      - .offset:         80
        .size:           4
        .value_kind:     hidden_block_count_z
      - .offset:         84
        .size:           2
        .value_kind:     hidden_group_size_x
      - .offset:         86
        .size:           2
        .value_kind:     hidden_group_size_y
      - .offset:         88
        .size:           2
        .value_kind:     hidden_group_size_z
      - .offset:         90
        .size:           2
        .value_kind:     hidden_remainder_x
      - .offset:         92
        .size:           2
        .value_kind:     hidden_remainder_y
      - .offset:         94
        .size:           2
        .value_kind:     hidden_remainder_z
      - .offset:         112
        .size:           8
        .value_kind:     hidden_global_offset_x
      - .offset:         120
        .size:           8
        .value_kind:     hidden_global_offset_y
      - .offset:         128
        .size:           8
        .value_kind:     hidden_global_offset_z
      - .offset:         136
        .size:           2
        .value_kind:     hidden_grid_dims
    .group_segment_fixed_size: 0
    .kernarg_segment_align: 8
    .kernarg_segment_size: 328
    .language:       OpenCL C
    .language_version:
      - 2
      - 0
    .max_flat_workgroup_size: 1024
    .name:           _Z24reshape_and_cache_kernelI14__hip_bfloat16hL18Fp8KVCacheDataType1EEvPKT_S4_PT0_S6_PKliiiiiiff
    .private_segment_fixed_size: 0
    .sgpr_count:     100
    .sgpr_spill_count: 11
    .symbol:         _Z24reshape_and_cache_kernelI14__hip_bfloat16hL18Fp8KVCacheDataType1EEvPKT_S4_PT0_S6_PKliiiiiiff.kd
    .uniform_work_group_size: 1
    .uses_dynamic_stack: false
    .vgpr_count:     73
    .vgpr_spill_count: 0
    .wavefront_size: 64
amdhsa.target:   amdgcn-amd-amdhsa--gfx90a
amdhsa.version:
  - 1
  - 2
...

	.end_amdgpu_metadata
